;; amdgpu-corpus repo=pytorch/pytorch kind=compiled arch=gfx1250 opt=O3
	.amdgcn_target "amdgcn-amd-amdhsa--gfx1250"
	.amdhsa_code_object_version 6
	.section	.text._ZN2at6native12_GLOBAL__N_129ctc_loss_log_alpha_gpu_kernelIdlEEvPT_PKS3_PKllPKT0_S8_lS4_llllllS8_lll,"axG",@progbits,_ZN2at6native12_GLOBAL__N_129ctc_loss_log_alpha_gpu_kernelIdlEEvPT_PKS3_PKllPKT0_S8_lS4_llllllS8_lll,comdat
	.globl	_ZN2at6native12_GLOBAL__N_129ctc_loss_log_alpha_gpu_kernelIdlEEvPT_PKS3_PKllPKT0_S8_lS4_llllllS8_lll ; -- Begin function _ZN2at6native12_GLOBAL__N_129ctc_loss_log_alpha_gpu_kernelIdlEEvPT_PKS3_PKllPKT0_S8_lS4_llllllS8_lll
	.p2align	8
	.type	_ZN2at6native12_GLOBAL__N_129ctc_loss_log_alpha_gpu_kernelIdlEEvPT_PKS3_PKllPKT0_S8_lS4_llllllS8_lll,@function
_ZN2at6native12_GLOBAL__N_129ctc_loss_log_alpha_gpu_kernelIdlEEvPT_PKS3_PKllPKT0_S8_lS4_llllllS8_lll: ; @_ZN2at6native12_GLOBAL__N_129ctc_loss_log_alpha_gpu_kernelIdlEEvPT_PKS3_PKllPKT0_S8_lS4_llllllS8_lll
; %bb.0:
	s_clause 0x1
	s_load_u16 s2, s[0:1], 0x9e
	s_load_b128 s[12:15], s[0:1], 0x78
	s_bfe_u32 s3, ttmp6, 0x40010
	s_bfe_u32 s4, ttmp6, 0x40004
	s_add_co_i32 s3, s3, 1
	v_bfe_u32 v1, v0, 10, 10
	s_mul_i32 s3, ttmp7, s3
	v_mov_b32_e32 v3, 0
	s_add_co_i32 s4, s4, s3
	s_getreg_b32 s3, hwreg(HW_REG_IB_STS2, 6, 4)
	s_delay_alu instid0(SALU_CYCLE_1) | instskip(SKIP_4) | instid1(VALU_DEP_1)
	s_cmp_eq_u32 s3, 0
	s_cselect_b32 s3, ttmp7, s4
	s_wait_kmcnt 0x0
	v_mad_u32 v2, s3, s2, v1
	s_mov_b32 s2, exec_lo
	v_cmpx_gt_i64_e64 s[14:15], v[2:3]
	s_cbranch_execz .LBB0_53
; %bb.1:
	s_clause 0x1
	s_load_b64 s[2:3], s[0:1], 0x10
	s_load_b64 s[4:5], s[0:1], 0x28
	v_lshlrev_b64_e32 v[4:5], 3, v[2:3]
	s_load_b64 s[14:15], s[0:1], 0x38
	s_wait_kmcnt 0x0
	s_delay_alu instid0(VALU_DEP_1)
	v_add_nc_u64_e32 v[6:7], s[2:3], v[4:5]
	v_add_nc_u64_e32 v[4:5], s[4:5], v[4:5]
	s_mov_b32 s2, exec_lo
	global_load_b64 v[6:7], v[6:7], off
	global_load_b64 v[4:5], v[4:5], off
	s_wait_loadcnt 0x1
	s_wait_xcnt 0x0
	v_cmpx_ne_u64_e32 0, v[6:7]
	s_xor_b32 s33, exec_lo, s2
	s_cbranch_execz .LBB0_50
; %bb.2:
	s_clause 0x3
	s_load_b64 s[2:3], s[0:1], 0x70
	s_load_b128 s[16:19], s[0:1], 0x60
	s_load_b256 s[4:11], s[0:1], 0x40
	s_load_b64 s[24:25], s[0:1], 0x30
	v_and_b32_e32 v0, 0x3ff, v0
	s_wait_kmcnt 0x0
	v_lshl_add_u64 v[8:9], v[2:3], 3, s[2:3]
	v_mul_u64_e32 v[22:23], s[6:7], v[2:3]
	v_cmp_gt_i64_e64 s3, s[24:25], -1
	s_add_nc_u64 s[6:7], s[0:1], 0x90
	global_load_b64 v[12:13], v[8:9], off
	s_wait_xcnt 0x0
	v_mul_u64_e32 v[8:9], s[10:11], v[2:3]
	s_clause 0x2
	s_load_b64 s[26:27], s[0:1], 0x20
	s_load_b128 s[20:23], s[0:1], 0x0
	s_load_b64 s[10:11], s[0:1], 0x88
	s_lshl_b64 s[24:25], s[24:25], 1
	s_and_b32 vcc_lo, exec_lo, s3
	s_delay_alu instid0(VALU_DEP_1)
	v_lshlrev_b64_e32 v[10:11], 3, v[8:9]
	s_wait_loadcnt 0x0
	s_wait_kmcnt 0x0
	v_lshl_add_u64 v[12:13], v[12:13], 3, s[26:27]
	s_cbranch_vccz .LBB0_17
; %bb.3:
	v_mov_b32_e32 v1, 0
	s_load_b32 s26, s[6:7], 0xc
	v_cmp_ne_u64_e64 s2, 0, v[4:5]
	s_mul_u64 s[28:29], s[10:11], s[8:9]
	s_mov_b32 s27, 0
	v_mul_u64_e32 v[14:15], s[18:19], v[0:1]
	s_wait_kmcnt 0x0
	s_and_b32 s26, s26, 0xffff
	s_delay_alu instid0(SALU_CYCLE_1) | instskip(NEXT) | instid1(SALU_CYCLE_1)
	s_mul_u64 s[30:31], s[18:19], s[26:27]
	s_lshl_b64 s[30:31], s[30:31], 3
	s_delay_alu instid0(VALU_DEP_1) | instskip(SKIP_1) | instid1(VALU_DEP_2)
	v_lshl_add_u64 v[16:17], v[14:15], 3, v[10:11]
	v_lshl_add_u64 v[14:15], v[22:23], 3, s[22:23]
	v_add_nc_u64_e32 v[16:17], s[20:21], v[16:17]
	s_delay_alu instid0(VALU_DEP_2)
	v_lshl_add_u64 v[18:19], s[28:29], 3, v[14:15]
	s_mov_b64 s[28:29], 0
	s_branch .LBB0_5
.LBB0_4:                                ;   in Loop: Header=BB0_5 Depth=1
	s_wait_xcnt 0x0
	s_or_b32 exec_lo, exec_lo, s34
	s_add_nc_u64 s[28:29], s[28:29], s[26:27]
	v_add_nc_u64_e32 v[16:17], s[30:31], v[16:17]
	v_cmp_gt_i64_e64 s34, s[28:29], s[24:25]
	s_and_b32 vcc_lo, exec_lo, s34
	s_cbranch_vccnz .LBB0_17
.LBB0_5:                                ; =>This Inner Loop Header: Depth=1
	v_add_nc_u64_e32 v[20:21], s[28:29], v[0:1]
	s_mov_b32 s34, exec_lo
                                        ; implicit-def: $vgpr24_vgpr25
	s_delay_alu instid0(VALU_DEP_1)
	v_cmpx_lt_i64_e32 0, v[20:21]
	s_xor_b32 s34, exec_lo, s34
	s_cbranch_execnz .LBB0_8
; %bb.6:                                ;   in Loop: Header=BB0_5 Depth=1
	s_and_not1_saveexec_b32 s34, s34
	s_cbranch_execnz .LBB0_13
.LBB0_7:                                ;   in Loop: Header=BB0_5 Depth=1
	s_or_b32 exec_lo, exec_lo, s34
	s_delay_alu instid0(SALU_CYCLE_1)
	s_mov_b32 s34, exec_lo
	v_cmpx_ge_i64_e64 s[24:25], v[20:21]
	s_cbranch_execz .LBB0_4
	s_branch .LBB0_16
.LBB0_8:                                ;   in Loop: Header=BB0_5 Depth=1
	s_wait_loadcnt 0x0
	v_mov_b64_e32 v[24:25], 0xfff0000000000000
	s_mov_b32 s35, exec_lo
	v_cmpx_eq_u64_e32 1, v[20:21]
	s_cbranch_execz .LBB0_12
; %bb.9:                                ;   in Loop: Header=BB0_5 Depth=1
	v_mov_b64_e32 v[24:25], 0xfff0000000000000
	s_and_saveexec_b32 s36, s2
	s_cbranch_execz .LBB0_11
; %bb.10:                               ;   in Loop: Header=BB0_5 Depth=1
	global_load_b64 v[24:25], v[12:13], off
	s_wait_loadcnt 0x0
	v_mul_u64_e32 v[24:25], s[8:9], v[24:25]
	s_delay_alu instid0(VALU_DEP_1)
	v_lshl_add_u64 v[24:25], v[24:25], 3, v[14:15]
	global_load_b64 v[24:25], v[24:25], off
.LBB0_11:                               ;   in Loop: Header=BB0_5 Depth=1
	s_wait_xcnt 0x0
	s_or_b32 exec_lo, exec_lo, s36
.LBB0_12:                               ;   in Loop: Header=BB0_5 Depth=1
	s_delay_alu instid0(SALU_CYCLE_1)
	s_or_b32 exec_lo, exec_lo, s35
	s_and_not1_saveexec_b32 s34, s34
	s_cbranch_execz .LBB0_7
.LBB0_13:                               ;   in Loop: Header=BB0_5 Depth=1
	s_wait_loadcnt 0x0
	v_mov_b64_e32 v[24:25], 0xfff0000000000000
	s_mov_b32 s35, exec_lo
	v_cmpx_eq_u64_e32 0, v[20:21]
	s_cbranch_execz .LBB0_15
; %bb.14:                               ;   in Loop: Header=BB0_5 Depth=1
	global_load_b64 v[24:25], v[18:19], off
.LBB0_15:                               ;   in Loop: Header=BB0_5 Depth=1
	s_wait_xcnt 0x0
	s_or_b32 exec_lo, exec_lo, s35
	s_delay_alu instid0(SALU_CYCLE_1) | instskip(NEXT) | instid1(SALU_CYCLE_1)
	s_or_b32 exec_lo, exec_lo, s34
	s_mov_b32 s34, exec_lo
	v_cmpx_ge_i64_e64 s[24:25], v[20:21]
	s_cbranch_execz .LBB0_4
.LBB0_16:                               ;   in Loop: Header=BB0_5 Depth=1
	s_wait_loadcnt 0x0
	global_store_b64 v[16:17], v[24:25], off
	s_branch .LBB0_4
.LBB0_17:
	v_cmp_lt_i64_e64 s2, 0, v[4:5]
	s_and_not1_b32 vcc_lo, exec_lo, s3
	s_cbranch_vccnz .LBB0_45
; %bb.18:
	v_mov_b32_e32 v15, 0
	s_load_b32 s3, s[6:7], 0xc
	s_load_b64 s[26:27], s[0:1], 0x18
	s_lshl_b64 s[30:31], s[16:17], 3
	s_lshl_b64 s[34:35], s[4:5], 3
	s_wait_xcnt 0x0
	s_add_nc_u64 s[0:1], s[20:21], s[30:31]
	v_mov_b32_e32 v1, v15
	s_add_nc_u64 s[4:5], s[22:23], s[34:35]
	s_mov_b32 s29, 0
	v_lshl_add_u64 v[22:23], v[22:23], 3, s[4:5]
	s_mov_b64 s[36:37], 0x3fe5555555555555
	v_mul_u64_e32 v[20:21], s[18:19], v[0:1]
	v_add_nc_u64_e32 v[16:17], -2, v[0:1]
	v_add_nc_u64_e32 v[18:19], -1, v[0:1]
	s_mov_b64 s[22:23], 0x3fe62e42fefa39ef
	s_mov_b64 s[38:39], 0
	s_lshl_b64 s[8:9], s[8:9], 3
                                        ; implicit-def: $vgpr32_vgpr33
                                        ; implicit-def: $vgpr32_vgpr33
	;; [unrolled: 1-line block ×13, first 2 shown]
	s_delay_alu instid0(VALU_DEP_2) | instskip(NEXT) | instid1(VALU_DEP_2)
	v_mul_u64_e32 v[28:29], s[18:19], v[16:17]
	v_mul_u64_e32 v[30:31], s[18:19], v[18:19]
	v_lshlrev_b64_e32 v[16:17], 1, v[4:5]
	v_mov_b64_e32 v[18:19], 0x3e928af3fca7ab0c
	s_wait_kmcnt 0x0
	v_cmp_gt_i64_e64 s44, s[26:27], 1
	s_and_b32 s28, s3, 0xffff
	s_delay_alu instid0(SALU_CYCLE_1) | instskip(NEXT) | instid1(SALU_CYCLE_1)
	s_mul_u64 s[4:5], s[18:19], s[28:29]
	s_lshl_b64 s[40:41], s[4:5], 3
	v_lshlrev_b64_e32 v[26:27], 3, v[20:21]
	v_mov_b64_e32 v[20:21], 0x3fc385386b47b09a
	s_wait_loadcnt 0x0
	s_delay_alu instid0(VALU_DEP_2)
	v_add_nc_u64_e32 v[24:25], s[0:1], v[26:27]
	v_add_nc_u64_e32 v[26:27], s[20:21], v[26:27]
	v_lshl_add_u64 v[28:29], v[28:29], 3, s[20:21]
	v_lshl_add_u64 v[30:31], v[30:31], 3, s[20:21]
	s_branch .LBB0_20
.LBB0_19:                               ;   in Loop: Header=BB0_20 Depth=1
	s_add_nc_u64 s[38:39], s[38:39], s[28:29]
	v_add_nc_u64_e32 v[24:25], s[40:41], v[24:25]
	v_cmp_gt_i64_e64 s0, s[38:39], s[24:25]
	v_add_nc_u64_e32 v[26:27], s[40:41], v[26:27]
	v_add_nc_u64_e32 v[28:29], s[40:41], v[28:29]
	;; [unrolled: 1-line block ×3, first 2 shown]
	s_and_b32 vcc_lo, exec_lo, s0
	s_cbranch_vccnz .LBB0_45
.LBB0_20:                               ; =>This Loop Header: Depth=1
                                        ;     Child Loop BB0_31 Depth 2
	v_add_nc_u64_e32 v[34:35], s[38:39], v[0:1]
	s_wait_loadcnt 0x0
	v_mov_b64_e32 v[36:37], s[10:11]
	s_mov_b32 s45, 0
	s_delay_alu instid0(VALU_DEP_2) | instskip(SKIP_1) | instid1(SALU_CYCLE_1)
	v_cmp_le_i64_e64 s1, v[34:35], v[16:17]
	s_and_b32 s0, s2, s1
	s_and_saveexec_b32 s3, s0
	s_cbranch_execz .LBB0_28
; %bb.21:                               ;   in Loop: Header=BB0_20 Depth=1
	v_and_b32_e32 v14, 1, v34
	v_mov_b64_e32 v[36:37], s[10:11]
	s_delay_alu instid0(VALU_DEP_2)
	v_cmp_eq_u32_e32 vcc_lo, 1, v14
	s_and_saveexec_b32 s0, vcc_lo
	s_cbranch_execz .LBB0_23
; %bb.22:                               ;   in Loop: Header=BB0_20 Depth=1
	v_lshrrev_b64 v[32:33], 1, v[34:35]
	s_delay_alu instid0(VALU_DEP_1) | instskip(NEXT) | instid1(VALU_DEP_1)
	v_mul_u64_e32 v[32:33], s[12:13], v[32:33]
	v_lshl_add_u64 v[32:33], v[32:33], 3, v[12:13]
	global_load_b64 v[36:37], v[32:33], off
.LBB0_23:                               ;   in Loop: Header=BB0_20 Depth=1
	s_wait_xcnt 0x0
	s_or_b32 exec_lo, exec_lo, s0
	s_mov_b32 s5, 0
	s_mov_b32 s4, exec_lo
	v_cmpx_lt_u64_e32 1, v[34:35]
	s_cbranch_execz .LBB0_27
; %bb.24:                               ;   in Loop: Header=BB0_20 Depth=1
	v_mov_b64_e32 v[32:33], s[10:11]
	s_and_saveexec_b32 s0, vcc_lo
	s_cbranch_execz .LBB0_26
; %bb.25:                               ;   in Loop: Header=BB0_20 Depth=1
	v_add_nc_u64_e32 v[32:33], -2, v[34:35]
	s_delay_alu instid0(VALU_DEP_1) | instskip(NEXT) | instid1(VALU_DEP_1)
	v_lshrrev_b32_e32 v14, 31, v33
	v_add_nc_u64_e32 v[32:33], v[32:33], v[14:15]
	s_delay_alu instid0(VALU_DEP_1) | instskip(NEXT) | instid1(VALU_DEP_1)
	v_lshrrev_b64 v[32:33], 1, v[32:33]
	v_mul_u64_e32 v[32:33], s[12:13], v[32:33]
	s_delay_alu instid0(VALU_DEP_1)
	v_lshl_add_u64 v[32:33], v[32:33], 3, v[12:13]
	global_load_b64 v[32:33], v[32:33], off
.LBB0_26:                               ;   in Loop: Header=BB0_20 Depth=1
	s_wait_xcnt 0x0
	s_or_b32 exec_lo, exec_lo, s0
	s_wait_loadcnt 0x0
	s_delay_alu instid0(VALU_DEP_1)
	v_cmp_ne_u64_e32 vcc_lo, v[32:33], v[36:37]
	s_and_b32 s5, vcc_lo, exec_lo
.LBB0_27:                               ;   in Loop: Header=BB0_20 Depth=1
	s_or_b32 exec_lo, exec_lo, s4
	s_delay_alu instid0(SALU_CYCLE_1)
	s_and_b32 s45, s5, exec_lo
.LBB0_28:                               ;   in Loop: Header=BB0_20 Depth=1
	s_or_b32 exec_lo, exec_lo, s3
	s_delay_alu instid0(SALU_CYCLE_1)
	s_and_not1_b32 vcc_lo, exec_lo, s44
	s_cbranch_vccnz .LBB0_19
; %bb.29:                               ;   in Loop: Header=BB0_20 Depth=1
	s_wait_loadcnt 0x0
	v_mad_nc_u64_u32 v[32:33], s8, v36, v[22:23]
	v_cmp_ge_i64_e32 vcc_lo, s[24:25], v[34:35]
	v_cmp_ne_u64_e64 s0, 0, v[34:35]
	v_mov_b64_e32 v[34:35], v[30:31]
	v_mov_b64_e32 v[38:39], v[26:27]
	;; [unrolled: 1-line block ×3, first 2 shown]
	s_mov_b64 s[42:43], 1
	s_xor_b32 s46, s1, -1
	v_mad_u32 v14, s9, v36, v33
	s_delay_alu instid0(VALU_DEP_1)
	v_mad_u32 v33, s8, v37, v14
	v_mov_b64_e32 v[36:37], v[28:29]
	s_branch .LBB0_31
.LBB0_30:                               ;   in Loop: Header=BB0_31 Depth=2
	s_wait_xcnt 0x0
	s_or_b32 exec_lo, exec_lo, s1
	v_add_nc_u64_e32 v[40:41], s[30:31], v[40:41]
	v_add_nc_u64_e32 v[38:39], s[30:31], v[38:39]
	;; [unrolled: 1-line block ×5, first 2 shown]
	s_add_nc_u64 s[42:43], s[42:43], 1
	s_delay_alu instid0(SALU_CYCLE_1)
	s_cmp_eq_u64 s[26:27], s[42:43]
	s_cbranch_scc1 .LBB0_19
.LBB0_31:                               ;   Parent Loop BB0_20 Depth=1
                                        ; =>  This Inner Loop Header: Depth=2
	v_cmp_ge_i64_e64 s1, s[42:43], v[6:7]
	s_mov_b32 s47, 0
	s_wait_storecnt 0x0
	s_barrier_signal -1
	s_barrier_wait -1
	s_or_b32 s1, s46, s1
	s_delay_alu instid0(SALU_CYCLE_1) | instskip(NEXT) | instid1(SALU_CYCLE_1)
	s_and_saveexec_b32 s3, s1
	s_xor_b32 s1, exec_lo, s3
	s_cbranch_execnz .LBB0_34
; %bb.32:                               ;   in Loop: Header=BB0_31 Depth=2
	s_or_saveexec_b32 s48, s1
	v_mov_b64_e32 v[42:43], 0xfff0000000000000
	s_xor_b32 exec_lo, exec_lo, s48
	s_cbranch_execnz .LBB0_35
.LBB0_33:                               ;   in Loop: Header=BB0_31 Depth=2
	s_or_b32 exec_lo, exec_lo, s48
	s_and_saveexec_b32 s1, s47
	s_cbranch_execz .LBB0_30
	s_branch .LBB0_44
.LBB0_34:                               ;   in Loop: Header=BB0_31 Depth=2
	s_and_b32 s47, vcc_lo, exec_lo
	s_or_saveexec_b32 s48, s1
	v_mov_b64_e32 v[42:43], 0xfff0000000000000
	s_xor_b32 exec_lo, exec_lo, s48
	s_cbranch_execz .LBB0_33
.LBB0_35:                               ;   in Loop: Header=BB0_31 Depth=2
	v_add_nc_u64_e32 v[42:43], v[38:39], v[10:11]
	v_mov_b64_e32 v[44:45], 0xfff0000000000000
	v_mov_b64_e32 v[46:47], 0xfff0000000000000
	global_load_b64 v[48:49], v[42:43], off
	s_wait_loadcnt 0x0
	v_mov_b64_e32 v[42:43], v[48:49]
	s_and_saveexec_b32 s3, s0
	s_cbranch_execz .LBB0_39
; %bb.36:                               ;   in Loop: Header=BB0_31 Depth=2
	v_add_nc_u64_e32 v[42:43], v[34:35], v[10:11]
	s_mov_b32 s4, exec_lo
	global_load_b64 v[46:47], v[42:43], off
	s_wait_xcnt 0x0
	v_mov_b64_e32 v[42:43], v[48:49]
	s_wait_loadcnt 0x0
	v_cmpx_gt_f64_e32 v[46:47], v[48:49]
; %bb.37:                               ;   in Loop: Header=BB0_31 Depth=2
	v_mov_b64_e32 v[42:43], v[46:47]
; %bb.38:                               ;   in Loop: Header=BB0_31 Depth=2
	s_or_b32 exec_lo, exec_lo, s4
.LBB0_39:                               ;   in Loop: Header=BB0_31 Depth=2
	s_delay_alu instid0(SALU_CYCLE_1)
	s_or_b32 exec_lo, exec_lo, s3
	s_and_saveexec_b32 s3, s45
	s_cbranch_execz .LBB0_43
; %bb.40:                               ;   in Loop: Header=BB0_31 Depth=2
	v_add_nc_u64_e32 v[44:45], v[36:37], v[10:11]
	s_mov_b32 s4, exec_lo
	global_load_b64 v[44:45], v[44:45], off
	s_wait_loadcnt 0x0
	v_cmpx_gt_f64_e32 v[44:45], v[42:43]
; %bb.41:                               ;   in Loop: Header=BB0_31 Depth=2
	v_mov_b64_e32 v[42:43], v[44:45]
; %bb.42:                               ;   in Loop: Header=BB0_31 Depth=2
	s_or_b32 exec_lo, exec_lo, s4
.LBB0_43:                               ;   in Loop: Header=BB0_31 Depth=2
	s_delay_alu instid0(SALU_CYCLE_1) | instskip(NEXT) | instid1(VALU_DEP_1)
	s_or_b32 exec_lo, exec_lo, s3
	v_cmp_neq_f64_e64 s1, 0xfff00000, v[42:43]
	s_or_b32 s47, s47, exec_lo
	v_dual_cndmask_b32 v43, 0, v43, s1 :: v_dual_cndmask_b32 v42, 0, v42, s1
	s_delay_alu instid0(VALU_DEP_1) | instskip(SKIP_1) | instid1(VALU_DEP_2)
	v_add_f64_e64 v[48:49], v[48:49], -v[42:43]
	v_add_f64_e64 v[46:47], v[46:47], -v[42:43]
	v_mul_f64_e32 v[50:51], 0x3ff71547652b82fe, v[48:49]
	s_delay_alu instid0(VALU_DEP_2)
	v_mul_f64_e32 v[52:53], 0x3ff71547652b82fe, v[46:47]
	v_cmp_nlt_f64_e64 s4, 0x40900000, v[46:47]
	v_cmp_nlt_f64_e64 s1, 0x40900000, v[48:49]
	v_cmp_ngt_f64_e64 s3, 0xc090cc00, v[48:49]
	v_cmp_ngt_f64_e64 s5, 0xc090cc00, v[46:47]
	v_rndne_f64_e32 v[50:51], v[50:51]
	v_rndne_f64_e32 v[52:53], v[52:53]
	s_delay_alu instid0(VALU_DEP_2) | instskip(NEXT) | instid1(VALU_DEP_2)
	v_fmamk_f64 v[56:57], v[50:51], 0xbfe62e42fefa39ef, v[48:49]
	v_fmamk_f64 v[58:59], v[52:53], 0xbfe62e42fefa39ef, v[46:47]
	v_cvt_i32_f64_e32 v14, v[50:51]
	s_delay_alu instid0(VALU_DEP_3) | instskip(NEXT) | instid1(VALU_DEP_3)
	v_fmac_f64_e32 v[56:57], 0xbc7abc9e3b39803f, v[50:51]
	v_fmac_f64_e32 v[58:59], 0xbc7abc9e3b39803f, v[52:53]
	s_delay_alu instid0(VALU_DEP_2) | instskip(NEXT) | instid1(VALU_DEP_2)
	v_fmamk_f64 v[62:63], v[56:57], 0x3e5ade156a5dcb37, v[18:19]
	v_fmamk_f64 v[64:65], v[58:59], 0x3e5ade156a5dcb37, v[18:19]
	s_delay_alu instid0(VALU_DEP_2) | instskip(NEXT) | instid1(VALU_DEP_2)
	v_fmaak_f64 v[62:63], v[56:57], v[62:63], 0x3ec71dee623fde64
	v_fmaak_f64 v[64:65], v[58:59], v[64:65], 0x3ec71dee623fde64
	s_delay_alu instid0(VALU_DEP_2) | instskip(NEXT) | instid1(VALU_DEP_2)
	v_fmaak_f64 v[62:63], v[56:57], v[62:63], 0x3efa01997c89e6b0
	v_fmaak_f64 v[64:65], v[58:59], v[64:65], 0x3efa01997c89e6b0
	;; [unrolled: 3-line block ×8, first 2 shown]
	s_delay_alu instid0(VALU_DEP_2) | instskip(NEXT) | instid1(VALU_DEP_2)
	v_fma_f64 v[62:63], v[56:57], v[62:63], 1.0
	v_fma_f64 v[64:65], v[58:59], v[64:65], 1.0
	s_delay_alu instid0(VALU_DEP_2) | instskip(SKIP_1) | instid1(VALU_DEP_3)
	v_fma_f64 v[50:51], v[56:57], v[62:63], 1.0
	v_cvt_i32_f64_e32 v56, v[52:53]
	v_fma_f64 v[52:53], v[58:59], v[64:65], 1.0
	global_load_b64 v[64:65], v[32:33], off
	v_ldexp_f64 v[50:51], v[50:51], v14
	v_ldexp_f64 v[52:53], v[52:53], v56
	s_delay_alu instid0(VALU_DEP_2) | instskip(SKIP_1) | instid1(VALU_DEP_2)
	v_cndmask_b32_e64 v14, 0x7ff00000, v51, s1
	s_and_b32 s1, s3, s1
	v_cndmask_b32_e64 v48, 0x7ff00000, v53, s4
	s_delay_alu instid0(VALU_DEP_1) | instskip(NEXT) | instid1(VALU_DEP_1)
	v_dual_add_f64 v[44:45], v[44:45], -v[42:43] :: v_dual_cndmask_b32 v47, 0, v48, s5
	v_mul_f64_e32 v[54:55], 0x3ff71547652b82fe, v[44:45]
	v_cmp_nlt_f64_e64 s6, 0x40900000, v[44:45]
	v_cmp_ngt_f64_e64 s7, 0xc090cc00, v[44:45]
	s_delay_alu instid0(VALU_DEP_3) | instskip(NEXT) | instid1(VALU_DEP_1)
	v_rndne_f64_e32 v[54:55], v[54:55]
	v_fmamk_f64 v[60:61], v[54:55], 0xbfe62e42fefa39ef, v[44:45]
	v_cvt_i32_f64_e32 v57, v[54:55]
	v_cndmask_b32_e64 v44, 0, v50, s1
	s_and_b32 s1, s5, s4
	s_delay_alu instid0(SALU_CYCLE_1) | instskip(SKIP_1) | instid1(VALU_DEP_4)
	v_cndmask_b32_e64 v46, 0, v52, s1
	s_and_b32 s1, s7, s6
	v_fmac_f64_e32 v[60:61], 0xbc7abc9e3b39803f, v[54:55]
	s_delay_alu instid0(VALU_DEP_1) | instskip(NEXT) | instid1(VALU_DEP_1)
	v_fmamk_f64 v[66:67], v[60:61], 0x3e5ade156a5dcb37, v[18:19]
	v_fmaak_f64 v[66:67], v[60:61], v[66:67], 0x3ec71dee623fde64
	s_delay_alu instid0(VALU_DEP_1) | instskip(NEXT) | instid1(VALU_DEP_1)
	v_fmaak_f64 v[66:67], v[60:61], v[66:67], 0x3efa01997c89e6b0
	v_fmaak_f64 v[66:67], v[60:61], v[66:67], 0x3f2a01a014761f6e
	s_delay_alu instid0(VALU_DEP_1) | instskip(NEXT) | instid1(VALU_DEP_1)
	v_fmaak_f64 v[66:67], v[60:61], v[66:67], 0x3f56c16c1852b7b0
	;; [unrolled: 3-line block ×4, first 2 shown]
	v_fma_f64 v[66:67], v[60:61], v[66:67], 1.0
	s_delay_alu instid0(VALU_DEP_1) | instskip(NEXT) | instid1(VALU_DEP_1)
	v_fma_f64 v[54:55], v[60:61], v[66:67], 1.0
	v_ldexp_f64 v[54:55], v[54:55], v57
	s_delay_alu instid0(VALU_DEP_1) | instskip(SKIP_1) | instid1(VALU_DEP_1)
	v_cndmask_b32_e64 v49, 0x7ff00000, v55, s6
	v_cndmask_b32_e64 v45, 0, v14, s3
	v_dual_add_f64 v[44:45], v[44:45], v[46:47] :: v_dual_cndmask_b32 v47, 0, v49, s7
	s_delay_alu instid0(VALU_DEP_4) | instskip(NEXT) | instid1(VALU_DEP_1)
	v_cndmask_b32_e64 v46, 0, v54, s1
	v_add_f64_e32 v[44:45], v[46:47], v[44:45]
	s_delay_alu instid0(VALU_DEP_1) | instskip(NEXT) | instid1(VALU_DEP_1)
	v_frexp_mant_f64_e32 v[46:47], v[44:45]
	v_cmp_gt_f64_e64 s1, s[36:37], v[46:47]
	s_delay_alu instid0(VALU_DEP_1) | instskip(NEXT) | instid1(VALU_DEP_1)
	v_cndmask_b32_e64 v14, 0, 1, s1
	v_ldexp_f64 v[46:47], v[46:47], v14
	v_frexp_exp_i32_f64_e32 v14, v[44:45]
	s_delay_alu instid0(VALU_DEP_1) | instskip(SKIP_1) | instid1(VALU_DEP_4)
	v_subrev_co_ci_u32_e64 v14, null, 0, v14, s1
	v_cmp_class_f64_e64 s1, v[44:45], 0x204
	v_add_f64_e32 v[48:49], 1.0, v[46:47]
	v_add_f64_e32 v[54:55], -1.0, v[46:47]
	s_delay_alu instid0(VALU_DEP_2) | instskip(SKIP_1) | instid1(VALU_DEP_1)
	v_rcp_f64_e32 v[50:51], v[48:49]
	v_add_f64_e32 v[56:57], -1.0, v[48:49]
	v_add_f64_e64 v[46:47], v[46:47], -v[56:57]
	s_delay_alu instid0(TRANS32_DEP_1) | instskip(NEXT) | instid1(VALU_DEP_1)
	v_fma_f64 v[52:53], -v[48:49], v[50:51], 1.0
	v_fmac_f64_e32 v[50:51], v[52:53], v[50:51]
	s_delay_alu instid0(VALU_DEP_1) | instskip(NEXT) | instid1(VALU_DEP_1)
	v_fma_f64 v[52:53], -v[48:49], v[50:51], 1.0
	v_fmac_f64_e32 v[50:51], v[52:53], v[50:51]
	s_delay_alu instid0(VALU_DEP_1) | instskip(NEXT) | instid1(VALU_DEP_1)
	v_mul_f64_e32 v[52:53], v[54:55], v[50:51]
	v_mul_f64_e32 v[58:59], v[48:49], v[52:53]
	s_delay_alu instid0(VALU_DEP_1) | instskip(NEXT) | instid1(VALU_DEP_1)
	v_fma_f64 v[48:49], v[52:53], v[48:49], -v[58:59]
	v_fmac_f64_e32 v[48:49], v[52:53], v[46:47]
	s_delay_alu instid0(VALU_DEP_1) | instskip(NEXT) | instid1(VALU_DEP_1)
	v_add_f64_e32 v[46:47], v[58:59], v[48:49]
	v_add_f64_e64 v[56:57], v[54:55], -v[46:47]
	v_add_f64_e64 v[58:59], v[46:47], -v[58:59]
	s_delay_alu instid0(VALU_DEP_2) | instskip(NEXT) | instid1(VALU_DEP_2)
	v_add_f64_e64 v[54:55], v[54:55], -v[56:57]
	v_add_f64_e64 v[48:49], v[58:59], -v[48:49]
	s_delay_alu instid0(VALU_DEP_2) | instskip(NEXT) | instid1(VALU_DEP_1)
	v_add_f64_e64 v[46:47], v[54:55], -v[46:47]
	v_add_f64_e32 v[46:47], v[48:49], v[46:47]
	s_delay_alu instid0(VALU_DEP_1) | instskip(NEXT) | instid1(VALU_DEP_1)
	v_add_f64_e32 v[46:47], v[56:57], v[46:47]
	v_mul_f64_e32 v[46:47], v[50:51], v[46:47]
	s_delay_alu instid0(VALU_DEP_1) | instskip(NEXT) | instid1(VALU_DEP_1)
	v_add_f64_e32 v[48:49], v[52:53], v[46:47]
	v_mul_f64_e32 v[50:51], v[48:49], v[48:49]
	s_delay_alu instid0(VALU_DEP_1) | instskip(SKIP_1) | instid1(VALU_DEP_2)
	v_fmamk_f64 v[54:55], v[50:51], 0x3fc3ab76bf559e2b, v[20:21]
	v_mul_f64_e32 v[56:57], v[48:49], v[50:51]
	v_fmaak_f64 v[54:55], v[50:51], v[54:55], 0x3fc7474dd7f4df2e
	s_delay_alu instid0(VALU_DEP_1) | instskip(NEXT) | instid1(VALU_DEP_1)
	v_fmaak_f64 v[54:55], v[50:51], v[54:55], 0x3fcc71c016291751
	v_fmaak_f64 v[54:55], v[50:51], v[54:55], 0x3fd249249b27acf1
	s_delay_alu instid0(VALU_DEP_1) | instskip(NEXT) | instid1(VALU_DEP_1)
	v_fmaak_f64 v[54:55], v[50:51], v[54:55], 0x3fd99999998ef7b6
	v_fmaak_f64 v[50:51], v[50:51], v[54:55], 0x3fe5555555555780
	v_ldexp_f64 v[54:55], v[48:49], 1
	v_add_f64_e64 v[48:49], v[48:49], -v[52:53]
	s_delay_alu instid0(VALU_DEP_3) | instskip(SKIP_1) | instid1(VALU_DEP_3)
	v_mul_f64_e32 v[50:51], v[56:57], v[50:51]
	v_cvt_f64_i32_e32 v[56:57], v14
	v_add_f64_e64 v[46:47], v[46:47], -v[48:49]
	s_delay_alu instid0(VALU_DEP_3) | instskip(NEXT) | instid1(VALU_DEP_3)
	v_add_f64_e32 v[52:53], v[54:55], v[50:51]
	v_mul_f64_e32 v[58:59], 0x3fe62e42fefa39ef, v[56:57]
	s_delay_alu instid0(VALU_DEP_3) | instskip(NEXT) | instid1(VALU_DEP_3)
	v_ldexp_f64 v[46:47], v[46:47], 1
	v_add_f64_e64 v[48:49], v[52:53], -v[54:55]
	s_delay_alu instid0(VALU_DEP_3) | instskip(NEXT) | instid1(VALU_DEP_2)
	v_fma_f64 v[54:55], v[56:57], s[22:23], -v[58:59]
	v_add_f64_e64 v[48:49], v[50:51], -v[48:49]
	s_delay_alu instid0(VALU_DEP_2) | instskip(NEXT) | instid1(VALU_DEP_2)
	v_fmac_f64_e32 v[54:55], 0x3c7abc9e3b39803f, v[56:57]
	v_add_f64_e32 v[46:47], v[46:47], v[48:49]
	s_delay_alu instid0(VALU_DEP_2) | instskip(NEXT) | instid1(VALU_DEP_2)
	v_add_f64_e32 v[48:49], v[58:59], v[54:55]
	v_add_f64_e32 v[50:51], v[52:53], v[46:47]
	s_delay_alu instid0(VALU_DEP_2) | instskip(NEXT) | instid1(VALU_DEP_2)
	v_add_f64_e64 v[58:59], v[48:49], -v[58:59]
	v_add_f64_e32 v[56:57], v[48:49], v[50:51]
	v_add_f64_e64 v[52:53], v[50:51], -v[52:53]
	s_delay_alu instid0(VALU_DEP_3) | instskip(NEXT) | instid1(VALU_DEP_3)
	v_add_f64_e64 v[54:55], v[54:55], -v[58:59]
	v_add_f64_e64 v[60:61], v[56:57], -v[48:49]
	s_delay_alu instid0(VALU_DEP_3) | instskip(NEXT) | instid1(VALU_DEP_2)
	v_add_f64_e64 v[46:47], v[46:47], -v[52:53]
	v_add_f64_e64 v[62:63], v[56:57], -v[60:61]
	;; [unrolled: 1-line block ×3, first 2 shown]
	s_delay_alu instid0(VALU_DEP_3) | instskip(NEXT) | instid1(VALU_DEP_3)
	v_add_f64_e32 v[52:53], v[54:55], v[46:47]
	v_add_f64_e64 v[48:49], v[48:49], -v[62:63]
	s_delay_alu instid0(VALU_DEP_1) | instskip(NEXT) | instid1(VALU_DEP_3)
	v_add_f64_e32 v[48:49], v[50:51], v[48:49]
	v_add_f64_e64 v[50:51], v[52:53], -v[54:55]
	s_delay_alu instid0(VALU_DEP_2) | instskip(NEXT) | instid1(VALU_DEP_2)
	v_add_f64_e32 v[48:49], v[52:53], v[48:49]
	v_add_f64_e64 v[52:53], v[52:53], -v[50:51]
	v_add_f64_e64 v[46:47], v[46:47], -v[50:51]
	s_delay_alu instid0(VALU_DEP_3) | instskip(NEXT) | instid1(VALU_DEP_3)
	v_add_f64_e32 v[58:59], v[56:57], v[48:49]
	v_add_f64_e64 v[50:51], v[54:55], -v[52:53]
	s_delay_alu instid0(VALU_DEP_2) | instskip(NEXT) | instid1(VALU_DEP_2)
	v_add_f64_e64 v[52:53], v[58:59], -v[56:57]
	v_add_f64_e32 v[46:47], v[46:47], v[50:51]
	s_delay_alu instid0(VALU_DEP_2) | instskip(NEXT) | instid1(VALU_DEP_1)
	v_add_f64_e64 v[48:49], v[48:49], -v[52:53]
	v_add_f64_e32 v[46:47], v[46:47], v[48:49]
	s_delay_alu instid0(VALU_DEP_1) | instskip(NEXT) | instid1(VALU_DEP_1)
	v_add_f64_e32 v[46:47], v[58:59], v[46:47]
	v_dual_cndmask_b32 v14, v46, v44, s1 :: v_dual_cndmask_b32 v46, v47, v45, s1
	v_cmp_ngt_f64_e64 s1, 0, v[44:45]
	s_delay_alu instid0(VALU_DEP_1) | instskip(SKIP_1) | instid1(VALU_DEP_1)
	v_cndmask_b32_e64 v47, 0x7ff80000, v46, s1
	v_cmp_nge_f64_e64 s1, 0, v[44:45]
	v_cndmask_b32_e64 v46, 0, v14, s1
	v_cmp_neq_f64_e64 s1, 0, v[44:45]
	s_delay_alu instid0(VALU_DEP_1) | instskip(NEXT) | instid1(VALU_DEP_1)
	v_cndmask_b32_e64 v47, 0xfff00000, v47, s1
	v_add_f64_e32 v[42:43], v[42:43], v[46:47]
	s_wait_loadcnt 0x0
	s_delay_alu instid0(VALU_DEP_1)
	v_add_f64_e32 v[42:43], v[64:65], v[42:43]
	s_or_b32 exec_lo, exec_lo, s48
	s_and_saveexec_b32 s1, s47
	s_cbranch_execz .LBB0_30
.LBB0_44:                               ;   in Loop: Header=BB0_31 Depth=2
	v_add_nc_u64_e32 v[44:45], v[40:41], v[10:11]
	global_store_b64 v[44:45], v[42:43], off
	s_branch .LBB0_30
.LBB0_45:
	s_mov_b32 s3, exec_lo
	s_wait_loadcnt 0x0
	s_wait_storecnt 0x0
	s_barrier_signal -1
	s_barrier_wait -1
	v_cmpx_eq_u32_e32 0, v0
	s_cbranch_execz .LBB0_49
; %bb.46:
	v_add_nc_u64_e32 v[0:1], -1, v[6:7]
	v_mul_u64_e32 v[10:11], s[18:19], v[4:5]
	v_lshl_add_u64 v[6:7], v[8:9], 3, s[20:21]
	v_cmp_lt_i64_e32 vcc_lo, 0, v[4:5]
	v_mov_b64_e32 v[4:5], 0xfff0000000000000
	v_mul_u64_e32 v[0:1], s[16:17], v[0:1]
	s_delay_alu instid0(VALU_DEP_1) | instskip(NEXT) | instid1(VALU_DEP_1)
	v_lshl_add_u64 v[0:1], v[0:1], 3, v[6:7]
	v_lshl_add_u64 v[6:7], v[10:11], 4, v[0:1]
	global_load_b64 v[6:7], v[6:7], off
	s_wait_xcnt 0x0
	s_and_saveexec_b32 s0, vcc_lo
	s_cbranch_execz .LBB0_48
; %bb.47:
	v_lshlrev_b64_e32 v[4:5], 1, v[10:11]
	s_delay_alu instid0(VALU_DEP_1) | instskip(NEXT) | instid1(VALU_DEP_1)
	v_sub_nc_u64_e64 v[4:5], v[4:5], s[18:19]
	v_lshl_add_u64 v[0:1], v[4:5], 3, v[0:1]
	global_load_b64 v[4:5], v[0:1], off
.LBB0_48:
	s_wait_xcnt 0x0
	s_or_b32 exec_lo, exec_lo, s0
	s_wait_loadcnt 0x0
	v_cmp_gt_f64_e32 vcc_lo, v[6:7], v[4:5]
	v_mov_b64_e32 v[16:17], 0x3e928af3fca7ab0c
	v_mov_b64_e32 v[20:21], 0x3ec71dee623fde64
	v_lshl_add_u64 v[2:3], v[2:3], 3, s[14:15]
	v_dual_cndmask_b32 v1, v5, v7 :: v_dual_cndmask_b32 v0, v4, v6
	s_delay_alu instid0(VALU_DEP_1) | instskip(SKIP_1) | instid1(VALU_DEP_1)
	v_cmp_neq_f64_e32 vcc_lo, 0xfff00000, v[0:1]
	v_dual_cndmask_b32 v1, 0, v1 :: v_dual_cndmask_b32 v0, 0, v0
	v_add_f64_e64 v[6:7], v[6:7], -v[0:1]
	v_add_f64_e64 v[4:5], v[4:5], -v[0:1]
	s_delay_alu instid0(VALU_DEP_2) | instskip(NEXT) | instid1(VALU_DEP_2)
	v_mul_f64_e32 v[8:9], 0x3ff71547652b82fe, v[6:7]
	v_mul_f64_e32 v[10:11], 0x3ff71547652b82fe, v[4:5]
	v_cmp_nlt_f64_e32 vcc_lo, 0x40900000, v[6:7]
	v_cmp_nlt_f64_e64 s1, 0x40900000, v[4:5]
	v_cmp_ngt_f64_e64 s0, 0xc090cc00, v[6:7]
	v_cmp_ngt_f64_e64 s2, 0xc090cc00, v[4:5]
	v_rndne_f64_e32 v[8:9], v[8:9]
	v_rndne_f64_e32 v[10:11], v[10:11]
	s_delay_alu instid0(VALU_DEP_2) | instskip(NEXT) | instid1(VALU_DEP_2)
	v_fmamk_f64 v[12:13], v[8:9], 0xbfe62e42fefa39ef, v[6:7]
	v_fmamk_f64 v[14:15], v[10:11], 0xbfe62e42fefa39ef, v[4:5]
	s_delay_alu instid0(VALU_DEP_2) | instskip(NEXT) | instid1(VALU_DEP_2)
	v_fmac_f64_e32 v[12:13], 0xbc7abc9e3b39803f, v[8:9]
	v_fmac_f64_e32 v[14:15], 0xbc7abc9e3b39803f, v[10:11]
	s_delay_alu instid0(VALU_DEP_2) | instskip(NEXT) | instid1(VALU_DEP_2)
	v_fmamk_f64 v[18:19], v[12:13], 0x3e5ade156a5dcb37, v[16:17]
	v_fmac_f64_e32 v[16:17], 0x3e5ade156a5dcb37, v[14:15]
	s_delay_alu instid0(VALU_DEP_1) | instskip(SKIP_1) | instid1(VALU_DEP_1)
	v_fmac_f64_e32 v[20:21], v[14:15], v[16:17]
	v_mov_b64_e32 v[16:17], 0x3efa01997c89e6b0
	v_fmac_f64_e32 v[16:17], v[14:15], v[20:21]
	v_mov_b64_e32 v[20:21], 0x3f2a01a014761f6e
	s_delay_alu instid0(VALU_DEP_1) | instskip(SKIP_1) | instid1(VALU_DEP_1)
	v_fmac_f64_e32 v[20:21], v[14:15], v[16:17]
	v_mov_b64_e32 v[16:17], 0x3f56c16c1852b7b0
	v_fmac_f64_e32 v[16:17], v[14:15], v[20:21]
	v_mov_b64_e32 v[20:21], 0x3f81111111122322
	;; [unrolled: 5-line block ×3, first 2 shown]
	s_delay_alu instid0(VALU_DEP_1) | instskip(SKIP_2) | instid1(VALU_DEP_2)
	v_fmac_f64_e32 v[20:21], v[14:15], v[16:17]
	v_fmaak_f64 v[16:17], v[12:13], v[18:19], 0x3ec71dee623fde64
	v_mov_b64_e32 v[18:19], 0x3fe000000000000b
	v_fmaak_f64 v[16:17], v[12:13], v[16:17], 0x3efa01997c89e6b0
	s_delay_alu instid0(VALU_DEP_1) | instskip(NEXT) | instid1(VALU_DEP_1)
	v_fmaak_f64 v[16:17], v[12:13], v[16:17], 0x3f2a01a014761f6e
	v_fmaak_f64 v[16:17], v[12:13], v[16:17], 0x3f56c16c1852b7b0
	s_delay_alu instid0(VALU_DEP_1) | instskip(SKIP_2) | instid1(VALU_DEP_3)
	v_fmaak_f64 v[16:17], v[12:13], v[16:17], 0x3f81111111122322
	v_fmac_f64_e32 v[18:19], v[14:15], v[20:21]
	v_cvt_i32_f64_e32 v20, v[8:9]
	v_fmaak_f64 v[16:17], v[12:13], v[16:17], 0x3fa55555555502a1
	s_delay_alu instid0(VALU_DEP_1) | instskip(NEXT) | instid1(VALU_DEP_1)
	v_fmaak_f64 v[16:17], v[12:13], v[16:17], 0x3fc5555555555511
	v_fmaak_f64 v[16:17], v[12:13], v[16:17], 0x3fe000000000000b
	s_delay_alu instid0(VALU_DEP_1) | instskip(SKIP_1) | instid1(VALU_DEP_2)
	v_fma_f64 v[16:17], v[12:13], v[16:17], 1.0
	v_fma_f64 v[18:19], v[14:15], v[18:19], 1.0
	;; [unrolled: 1-line block ×3, first 2 shown]
	v_cvt_i32_f64_e32 v12, v[10:11]
	s_delay_alu instid0(VALU_DEP_3) | instskip(NEXT) | instid1(VALU_DEP_3)
	v_fma_f64 v[10:11], v[14:15], v[18:19], 1.0
	v_ldexp_f64 v[8:9], v[8:9], v20
	s_delay_alu instid0(VALU_DEP_2) | instskip(NEXT) | instid1(VALU_DEP_2)
	v_ldexp_f64 v[10:11], v[10:11], v12
	v_cndmask_b32_e32 v9, 0x7ff00000, v9, vcc_lo
	s_and_b32 vcc_lo, s0, vcc_lo
	s_delay_alu instid0(VALU_DEP_3) | instskip(SKIP_1) | instid1(VALU_DEP_2)
	v_cndmask_b32_e32 v4, 0, v8, vcc_lo
	s_and_b32 vcc_lo, s2, s1
	v_cndmask_b32_e64 v5, 0, v9, s0
	s_delay_alu instid0(VALU_DEP_4) | instskip(SKIP_1) | instid1(VALU_DEP_1)
	v_cndmask_b32_e64 v6, 0x7ff00000, v11, s1
	s_mov_b64 s[0:1], 0x3fe5555555555555
	v_cndmask_b32_e64 v7, 0, v6, s2
	v_cndmask_b32_e32 v6, 0, v10, vcc_lo
	s_delay_alu instid0(VALU_DEP_1) | instskip(NEXT) | instid1(VALU_DEP_1)
	v_add_f64_e32 v[4:5], v[4:5], v[6:7]
	v_frexp_mant_f64_e32 v[6:7], v[4:5]
	s_delay_alu instid0(VALU_DEP_1) | instskip(SKIP_2) | instid1(VALU_DEP_1)
	v_cmp_gt_f64_e32 vcc_lo, s[0:1], v[6:7]
	s_mov_b64 s[0:1], 0x3fc3ab76bf559e2b
	v_cndmask_b32_e64 v8, 0, 1, vcc_lo
	v_ldexp_f64 v[6:7], v[6:7], v8
	s_delay_alu instid0(VALU_DEP_1) | instskip(SKIP_1) | instid1(VALU_DEP_2)
	v_add_f64_e32 v[8:9], 1.0, v[6:7]
	v_add_f64_e32 v[14:15], -1.0, v[6:7]
	v_rcp_f64_e32 v[10:11], v[8:9]
	v_add_f64_e32 v[16:17], -1.0, v[8:9]
	s_delay_alu instid0(VALU_DEP_1) | instskip(NEXT) | instid1(TRANS32_DEP_1)
	v_add_f64_e64 v[6:7], v[6:7], -v[16:17]
	v_fma_f64 v[12:13], -v[8:9], v[10:11], 1.0
	s_delay_alu instid0(VALU_DEP_1) | instskip(NEXT) | instid1(VALU_DEP_1)
	v_fmac_f64_e32 v[10:11], v[12:13], v[10:11]
	v_fma_f64 v[12:13], -v[8:9], v[10:11], 1.0
	s_delay_alu instid0(VALU_DEP_1) | instskip(NEXT) | instid1(VALU_DEP_1)
	v_fmac_f64_e32 v[10:11], v[12:13], v[10:11]
	v_mul_f64_e32 v[12:13], v[14:15], v[10:11]
	s_delay_alu instid0(VALU_DEP_1) | instskip(NEXT) | instid1(VALU_DEP_1)
	v_mul_f64_e32 v[18:19], v[8:9], v[12:13]
	v_fma_f64 v[8:9], v[12:13], v[8:9], -v[18:19]
	s_delay_alu instid0(VALU_DEP_1) | instskip(NEXT) | instid1(VALU_DEP_1)
	v_fmac_f64_e32 v[8:9], v[12:13], v[6:7]
	v_add_f64_e32 v[6:7], v[18:19], v[8:9]
	s_delay_alu instid0(VALU_DEP_1) | instskip(SKIP_1) | instid1(VALU_DEP_2)
	v_add_f64_e64 v[16:17], v[14:15], -v[6:7]
	v_add_f64_e64 v[18:19], v[6:7], -v[18:19]
	;; [unrolled: 1-line block ×3, first 2 shown]
	s_delay_alu instid0(VALU_DEP_2) | instskip(NEXT) | instid1(VALU_DEP_2)
	v_add_f64_e64 v[8:9], v[18:19], -v[8:9]
	v_add_f64_e64 v[6:7], v[14:15], -v[6:7]
	s_delay_alu instid0(VALU_DEP_1) | instskip(NEXT) | instid1(VALU_DEP_1)
	v_add_f64_e32 v[6:7], v[8:9], v[6:7]
	v_add_f64_e32 v[6:7], v[16:17], v[6:7]
	s_delay_alu instid0(VALU_DEP_1) | instskip(NEXT) | instid1(VALU_DEP_1)
	v_mul_f64_e32 v[6:7], v[10:11], v[6:7]
	v_add_f64_e32 v[8:9], v[12:13], v[6:7]
	s_delay_alu instid0(VALU_DEP_1) | instskip(NEXT) | instid1(VALU_DEP_1)
	v_mul_f64_e32 v[10:11], v[8:9], v[8:9]
	v_fmaak_f64 v[14:15], s[0:1], v[10:11], 0x3fc385386b47b09a
	v_mul_f64_e32 v[16:17], v[8:9], v[10:11]
	s_mov_b64 s[0:1], 0x3fe62e42fefa39ef
	s_delay_alu instid0(VALU_DEP_2) | instskip(NEXT) | instid1(VALU_DEP_1)
	v_fmaak_f64 v[14:15], v[10:11], v[14:15], 0x3fc7474dd7f4df2e
	v_fmaak_f64 v[14:15], v[10:11], v[14:15], 0x3fcc71c016291751
	s_delay_alu instid0(VALU_DEP_1) | instskip(NEXT) | instid1(VALU_DEP_1)
	v_fmaak_f64 v[14:15], v[10:11], v[14:15], 0x3fd249249b27acf1
	v_fmaak_f64 v[14:15], v[10:11], v[14:15], 0x3fd99999998ef7b6
	s_delay_alu instid0(VALU_DEP_1) | instskip(SKIP_2) | instid1(VALU_DEP_3)
	v_fmaak_f64 v[10:11], v[10:11], v[14:15], 0x3fe5555555555780
	v_ldexp_f64 v[14:15], v[8:9], 1
	v_add_f64_e64 v[8:9], v[8:9], -v[12:13]
	v_mul_f64_e32 v[10:11], v[16:17], v[10:11]
	v_frexp_exp_i32_f64_e32 v16, v[4:5]
	s_delay_alu instid0(VALU_DEP_3) | instskip(NEXT) | instid1(VALU_DEP_3)
	v_add_f64_e64 v[6:7], v[6:7], -v[8:9]
	v_add_f64_e32 v[12:13], v[14:15], v[10:11]
	s_delay_alu instid0(VALU_DEP_3) | instskip(SKIP_1) | instid1(VALU_DEP_2)
	v_subrev_co_ci_u32_e64 v16, null, 0, v16, vcc_lo
	v_cmp_class_f64_e64 vcc_lo, v[4:5], 0x204
	v_cvt_f64_i32_e32 v[16:17], v16
	v_ldexp_f64 v[6:7], v[6:7], 1
	v_add_f64_e64 v[8:9], v[12:13], -v[14:15]
	s_delay_alu instid0(VALU_DEP_3) | instskip(NEXT) | instid1(VALU_DEP_2)
	v_mul_f64_e32 v[14:15], 0x3fe62e42fefa39ef, v[16:17]
	v_add_f64_e64 v[8:9], v[10:11], -v[8:9]
	s_delay_alu instid0(VALU_DEP_2) | instskip(NEXT) | instid1(VALU_DEP_2)
	v_fma_f64 v[10:11], v[16:17], s[0:1], -v[14:15]
	v_add_f64_e32 v[6:7], v[6:7], v[8:9]
	s_delay_alu instid0(VALU_DEP_2) | instskip(NEXT) | instid1(VALU_DEP_1)
	v_fmamk_f64 v[8:9], v[16:17], 0x3c7abc9e3b39803f, v[10:11]
	v_add_f64_e32 v[10:11], v[14:15], v[8:9]
	s_delay_alu instid0(VALU_DEP_3) | instskip(NEXT) | instid1(VALU_DEP_2)
	v_add_f64_e32 v[16:17], v[12:13], v[6:7]
	v_add_f64_e64 v[14:15], v[10:11], -v[14:15]
	s_delay_alu instid0(VALU_DEP_2) | instskip(SKIP_1) | instid1(VALU_DEP_3)
	v_add_f64_e32 v[18:19], v[10:11], v[16:17]
	v_add_f64_e64 v[12:13], v[16:17], -v[12:13]
	v_add_f64_e64 v[8:9], v[8:9], -v[14:15]
	s_delay_alu instid0(VALU_DEP_3) | instskip(NEXT) | instid1(VALU_DEP_3)
	v_add_f64_e64 v[20:21], v[18:19], -v[10:11]
	v_add_f64_e64 v[6:7], v[6:7], -v[12:13]
	s_delay_alu instid0(VALU_DEP_2) | instskip(SKIP_1) | instid1(VALU_DEP_3)
	v_add_f64_e64 v[22:23], v[18:19], -v[20:21]
	v_add_f64_e64 v[12:13], v[16:17], -v[20:21]
	v_add_f64_e32 v[14:15], v[8:9], v[6:7]
	s_delay_alu instid0(VALU_DEP_3) | instskip(NEXT) | instid1(VALU_DEP_1)
	v_add_f64_e64 v[10:11], v[10:11], -v[22:23]
	v_add_f64_e32 v[10:11], v[12:13], v[10:11]
	s_delay_alu instid0(VALU_DEP_3) | instskip(NEXT) | instid1(VALU_DEP_2)
	v_add_f64_e64 v[12:13], v[14:15], -v[8:9]
	v_add_f64_e32 v[10:11], v[14:15], v[10:11]
	s_delay_alu instid0(VALU_DEP_2) | instskip(SKIP_1) | instid1(VALU_DEP_3)
	v_add_f64_e64 v[14:15], v[14:15], -v[12:13]
	v_add_f64_e64 v[6:7], v[6:7], -v[12:13]
	v_add_f64_e32 v[16:17], v[18:19], v[10:11]
	s_delay_alu instid0(VALU_DEP_3) | instskip(NEXT) | instid1(VALU_DEP_2)
	v_add_f64_e64 v[8:9], v[8:9], -v[14:15]
	v_add_f64_e64 v[12:13], v[16:17], -v[18:19]
	s_delay_alu instid0(VALU_DEP_2) | instskip(NEXT) | instid1(VALU_DEP_2)
	v_add_f64_e32 v[6:7], v[6:7], v[8:9]
	v_add_f64_e64 v[8:9], v[10:11], -v[12:13]
	s_delay_alu instid0(VALU_DEP_1) | instskip(NEXT) | instid1(VALU_DEP_1)
	v_add_f64_e32 v[6:7], v[6:7], v[8:9]
	v_add_f64_e32 v[6:7], v[16:17], v[6:7]
	s_delay_alu instid0(VALU_DEP_1) | instskip(SKIP_1) | instid1(VALU_DEP_2)
	v_dual_cndmask_b32 v6, v6, v4 :: v_dual_cndmask_b32 v7, v7, v5
	v_cmp_ngt_f64_e32 vcc_lo, 0, v[4:5]
	v_cndmask_b32_e32 v7, 0x7ff80000, v7, vcc_lo
	v_cmp_nge_f64_e32 vcc_lo, 0, v[4:5]
	s_delay_alu instid0(VALU_DEP_4) | instskip(SKIP_1) | instid1(VALU_DEP_4)
	v_cndmask_b32_e32 v6, 0, v6, vcc_lo
	v_cmp_neq_f64_e32 vcc_lo, 0, v[4:5]
	v_cndmask_b32_e32 v7, 0xfff00000, v7, vcc_lo
	s_delay_alu instid0(VALU_DEP_1) | instskip(NEXT) | instid1(VALU_DEP_1)
	v_add_f64_e32 v[0:1], v[0:1], v[6:7]
	v_xor_b32_e32 v1, 0x80000000, v1
	global_store_b64 v[2:3], v[0:1], off
.LBB0_49:
	s_wait_xcnt 0x0
	s_or_b32 exec_lo, exec_lo, s3
                                        ; implicit-def: $vgpr0
                                        ; implicit-def: $vgpr2_vgpr3
                                        ; implicit-def: $vgpr4_vgpr5
.LBB0_50:
	s_and_not1_saveexec_b32 s0, s33
	s_cbranch_execz .LBB0_53
; %bb.51:
	v_and_b32_e32 v0, 0x3ff, v0
	s_delay_alu instid0(VALU_DEP_1)
	v_cmp_eq_u32_e32 vcc_lo, 0, v0
	s_and_b32 exec_lo, exec_lo, vcc_lo
	s_cbranch_execz .LBB0_53
; %bb.52:
	s_wait_loadcnt 0x0
	v_cmp_eq_u64_e32 vcc_lo, 0, v[4:5]
	v_bfrev_b32_e32 v6, 1
	v_lshl_add_u64 v[0:1], v[2:3], 3, s[14:15]
	s_delay_alu instid0(VALU_DEP_2)
	v_dual_mov_b32 v2, 0 :: v_dual_cndmask_b32 v3, 0x7ff00000, v6
	global_store_b64 v[0:1], v[2:3], off
.LBB0_53:
	s_sendmsg sendmsg(MSG_DEALLOC_VGPRS)
	s_endpgm
	.section	.rodata,"a",@progbits
	.p2align	6, 0x0
	.amdhsa_kernel _ZN2at6native12_GLOBAL__N_129ctc_loss_log_alpha_gpu_kernelIdlEEvPT_PKS3_PKllPKT0_S8_lS4_llllllS8_lll
		.amdhsa_group_segment_fixed_size 0
		.amdhsa_private_segment_fixed_size 0
		.amdhsa_kernarg_size 400
		.amdhsa_user_sgpr_count 2
		.amdhsa_user_sgpr_dispatch_ptr 0
		.amdhsa_user_sgpr_queue_ptr 0
		.amdhsa_user_sgpr_kernarg_segment_ptr 1
		.amdhsa_user_sgpr_dispatch_id 0
		.amdhsa_user_sgpr_kernarg_preload_length 0
		.amdhsa_user_sgpr_kernarg_preload_offset 0
		.amdhsa_user_sgpr_private_segment_size 0
		.amdhsa_wavefront_size32 1
		.amdhsa_uses_dynamic_stack 0
		.amdhsa_enable_private_segment 0
		.amdhsa_system_sgpr_workgroup_id_x 1
		.amdhsa_system_sgpr_workgroup_id_y 1
		.amdhsa_system_sgpr_workgroup_id_z 0
		.amdhsa_system_sgpr_workgroup_info 0
		.amdhsa_system_vgpr_workitem_id 1
		.amdhsa_next_free_vgpr 68
		.amdhsa_next_free_sgpr 49
		.amdhsa_named_barrier_count 0
		.amdhsa_reserve_vcc 1
		.amdhsa_float_round_mode_32 0
		.amdhsa_float_round_mode_16_64 0
		.amdhsa_float_denorm_mode_32 3
		.amdhsa_float_denorm_mode_16_64 3
		.amdhsa_fp16_overflow 0
		.amdhsa_memory_ordered 1
		.amdhsa_forward_progress 1
		.amdhsa_inst_pref_size 39
		.amdhsa_round_robin_scheduling 0
		.amdhsa_exception_fp_ieee_invalid_op 0
		.amdhsa_exception_fp_denorm_src 0
		.amdhsa_exception_fp_ieee_div_zero 0
		.amdhsa_exception_fp_ieee_overflow 0
		.amdhsa_exception_fp_ieee_underflow 0
		.amdhsa_exception_fp_ieee_inexact 0
		.amdhsa_exception_int_div_zero 0
	.end_amdhsa_kernel
	.section	.text._ZN2at6native12_GLOBAL__N_129ctc_loss_log_alpha_gpu_kernelIdlEEvPT_PKS3_PKllPKT0_S8_lS4_llllllS8_lll,"axG",@progbits,_ZN2at6native12_GLOBAL__N_129ctc_loss_log_alpha_gpu_kernelIdlEEvPT_PKS3_PKllPKT0_S8_lS4_llllllS8_lll,comdat
.Lfunc_end0:
	.size	_ZN2at6native12_GLOBAL__N_129ctc_loss_log_alpha_gpu_kernelIdlEEvPT_PKS3_PKllPKT0_S8_lS4_llllllS8_lll, .Lfunc_end0-_ZN2at6native12_GLOBAL__N_129ctc_loss_log_alpha_gpu_kernelIdlEEvPT_PKS3_PKllPKT0_S8_lS4_llllllS8_lll
                                        ; -- End function
	.set _ZN2at6native12_GLOBAL__N_129ctc_loss_log_alpha_gpu_kernelIdlEEvPT_PKS3_PKllPKT0_S8_lS4_llllllS8_lll.num_vgpr, 68
	.set _ZN2at6native12_GLOBAL__N_129ctc_loss_log_alpha_gpu_kernelIdlEEvPT_PKS3_PKllPKT0_S8_lS4_llllllS8_lll.num_agpr, 0
	.set _ZN2at6native12_GLOBAL__N_129ctc_loss_log_alpha_gpu_kernelIdlEEvPT_PKS3_PKllPKT0_S8_lS4_llllllS8_lll.numbered_sgpr, 49
	.set _ZN2at6native12_GLOBAL__N_129ctc_loss_log_alpha_gpu_kernelIdlEEvPT_PKS3_PKllPKT0_S8_lS4_llllllS8_lll.num_named_barrier, 0
	.set _ZN2at6native12_GLOBAL__N_129ctc_loss_log_alpha_gpu_kernelIdlEEvPT_PKS3_PKllPKT0_S8_lS4_llllllS8_lll.private_seg_size, 0
	.set _ZN2at6native12_GLOBAL__N_129ctc_loss_log_alpha_gpu_kernelIdlEEvPT_PKS3_PKllPKT0_S8_lS4_llllllS8_lll.uses_vcc, 1
	.set _ZN2at6native12_GLOBAL__N_129ctc_loss_log_alpha_gpu_kernelIdlEEvPT_PKS3_PKllPKT0_S8_lS4_llllllS8_lll.uses_flat_scratch, 0
	.set _ZN2at6native12_GLOBAL__N_129ctc_loss_log_alpha_gpu_kernelIdlEEvPT_PKS3_PKllPKT0_S8_lS4_llllllS8_lll.has_dyn_sized_stack, 0
	.set _ZN2at6native12_GLOBAL__N_129ctc_loss_log_alpha_gpu_kernelIdlEEvPT_PKS3_PKllPKT0_S8_lS4_llllllS8_lll.has_recursion, 0
	.set _ZN2at6native12_GLOBAL__N_129ctc_loss_log_alpha_gpu_kernelIdlEEvPT_PKS3_PKllPKT0_S8_lS4_llllllS8_lll.has_indirect_call, 0
	.section	.AMDGPU.csdata,"",@progbits
; Kernel info:
; codeLenInByte = 4896
; TotalNumSgprs: 51
; NumVgprs: 68
; ScratchSize: 0
; MemoryBound: 0
; FloatMode: 240
; IeeeMode: 1
; LDSByteSize: 0 bytes/workgroup (compile time only)
; SGPRBlocks: 0
; VGPRBlocks: 4
; NumSGPRsForWavesPerEU: 51
; NumVGPRsForWavesPerEU: 68
; NamedBarCnt: 0
; Occupancy: 12
; WaveLimiterHint : 1
; COMPUTE_PGM_RSRC2:SCRATCH_EN: 0
; COMPUTE_PGM_RSRC2:USER_SGPR: 2
; COMPUTE_PGM_RSRC2:TRAP_HANDLER: 0
; COMPUTE_PGM_RSRC2:TGID_X_EN: 1
; COMPUTE_PGM_RSRC2:TGID_Y_EN: 1
; COMPUTE_PGM_RSRC2:TGID_Z_EN: 0
; COMPUTE_PGM_RSRC2:TIDIG_COMP_CNT: 1
	.section	.text._ZN2at6native12_GLOBAL__N_129ctc_loss_log_alpha_gpu_kernelIdiEEvPT_PKS3_PKllPKT0_S8_lS4_llllllS8_lll,"axG",@progbits,_ZN2at6native12_GLOBAL__N_129ctc_loss_log_alpha_gpu_kernelIdiEEvPT_PKS3_PKllPKT0_S8_lS4_llllllS8_lll,comdat
	.globl	_ZN2at6native12_GLOBAL__N_129ctc_loss_log_alpha_gpu_kernelIdiEEvPT_PKS3_PKllPKT0_S8_lS4_llllllS8_lll ; -- Begin function _ZN2at6native12_GLOBAL__N_129ctc_loss_log_alpha_gpu_kernelIdiEEvPT_PKS3_PKllPKT0_S8_lS4_llllllS8_lll
	.p2align	8
	.type	_ZN2at6native12_GLOBAL__N_129ctc_loss_log_alpha_gpu_kernelIdiEEvPT_PKS3_PKllPKT0_S8_lS4_llllllS8_lll,@function
_ZN2at6native12_GLOBAL__N_129ctc_loss_log_alpha_gpu_kernelIdiEEvPT_PKS3_PKllPKT0_S8_lS4_llllllS8_lll: ; @_ZN2at6native12_GLOBAL__N_129ctc_loss_log_alpha_gpu_kernelIdiEEvPT_PKS3_PKllPKT0_S8_lS4_llllllS8_lll
; %bb.0:
	s_clause 0x1
	s_load_u16 s2, s[0:1], 0x9e
	s_load_b128 s[12:15], s[0:1], 0x78
	s_bfe_u32 s3, ttmp6, 0x40010
	s_bfe_u32 s4, ttmp6, 0x40004
	s_add_co_i32 s3, s3, 1
	v_bfe_u32 v1, v0, 10, 10
	s_mul_i32 s3, ttmp7, s3
	v_mov_b32_e32 v3, 0
	s_add_co_i32 s4, s4, s3
	s_getreg_b32 s3, hwreg(HW_REG_IB_STS2, 6, 4)
	s_delay_alu instid0(SALU_CYCLE_1) | instskip(SKIP_4) | instid1(VALU_DEP_1)
	s_cmp_eq_u32 s3, 0
	s_cselect_b32 s3, ttmp7, s4
	s_wait_kmcnt 0x0
	v_mad_u32 v2, s3, s2, v1
	s_mov_b32 s2, exec_lo
	v_cmpx_gt_i64_e64 s[14:15], v[2:3]
	s_cbranch_execz .LBB1_53
; %bb.1:
	s_clause 0x1
	s_load_b64 s[2:3], s[0:1], 0x10
	s_load_b64 s[4:5], s[0:1], 0x28
	v_lshlrev_b64_e32 v[4:5], 3, v[2:3]
	s_load_b64 s[14:15], s[0:1], 0x38
	s_wait_kmcnt 0x0
	s_delay_alu instid0(VALU_DEP_1)
	v_add_nc_u64_e32 v[6:7], s[2:3], v[4:5]
	v_add_nc_u64_e32 v[4:5], s[4:5], v[4:5]
	s_mov_b32 s2, exec_lo
	global_load_b64 v[6:7], v[6:7], off
	global_load_b64 v[4:5], v[4:5], off
	s_wait_loadcnt 0x1
	s_wait_xcnt 0x0
	v_cmpx_ne_u64_e32 0, v[6:7]
	s_xor_b32 s33, exec_lo, s2
	s_cbranch_execz .LBB1_50
; %bb.2:
	s_clause 0x3
	s_load_b64 s[2:3], s[0:1], 0x70
	s_load_b128 s[16:19], s[0:1], 0x60
	s_load_b256 s[4:11], s[0:1], 0x40
	s_load_b64 s[24:25], s[0:1], 0x30
	v_and_b32_e32 v0, 0x3ff, v0
	s_wait_kmcnt 0x0
	v_lshl_add_u64 v[8:9], v[2:3], 3, s[2:3]
	v_mul_u64_e32 v[22:23], s[6:7], v[2:3]
	v_cmp_gt_i64_e64 s3, s[24:25], -1
	s_add_nc_u64 s[6:7], s[0:1], 0x90
	global_load_b64 v[12:13], v[8:9], off
	s_wait_xcnt 0x0
	v_mul_u64_e32 v[8:9], s[10:11], v[2:3]
	s_clause 0x2
	s_load_b64 s[26:27], s[0:1], 0x20
	s_load_b128 s[20:23], s[0:1], 0x0
	s_load_b64 s[10:11], s[0:1], 0x88
	s_lshl_b64 s[24:25], s[24:25], 1
	s_and_b32 vcc_lo, exec_lo, s3
	s_delay_alu instid0(VALU_DEP_1)
	v_lshlrev_b64_e32 v[10:11], 3, v[8:9]
	s_wait_loadcnt 0x0
	s_wait_kmcnt 0x0
	v_lshl_add_u64 v[12:13], v[12:13], 2, s[26:27]
	s_cbranch_vccz .LBB1_17
; %bb.3:
	v_mov_b32_e32 v1, 0
	s_load_b32 s26, s[6:7], 0xc
	v_cmp_ne_u64_e64 s2, 0, v[4:5]
	s_mul_u64 s[28:29], s[10:11], s[8:9]
	s_mov_b32 s27, 0
	v_mul_u64_e32 v[14:15], s[18:19], v[0:1]
	s_wait_kmcnt 0x0
	s_and_b32 s26, s26, 0xffff
	s_delay_alu instid0(SALU_CYCLE_1) | instskip(NEXT) | instid1(SALU_CYCLE_1)
	s_mul_u64 s[30:31], s[18:19], s[26:27]
	s_lshl_b64 s[30:31], s[30:31], 3
	s_delay_alu instid0(VALU_DEP_1) | instskip(SKIP_1) | instid1(VALU_DEP_2)
	v_lshl_add_u64 v[16:17], v[14:15], 3, v[10:11]
	v_lshl_add_u64 v[14:15], v[22:23], 3, s[22:23]
	v_add_nc_u64_e32 v[16:17], s[20:21], v[16:17]
	s_delay_alu instid0(VALU_DEP_2)
	v_lshl_add_u64 v[18:19], s[28:29], 3, v[14:15]
	s_mov_b64 s[28:29], 0
	s_branch .LBB1_5
.LBB1_4:                                ;   in Loop: Header=BB1_5 Depth=1
	s_wait_xcnt 0x0
	s_or_b32 exec_lo, exec_lo, s34
	s_add_nc_u64 s[28:29], s[28:29], s[26:27]
	v_add_nc_u64_e32 v[16:17], s[30:31], v[16:17]
	v_cmp_gt_i64_e64 s34, s[28:29], s[24:25]
	s_and_b32 vcc_lo, exec_lo, s34
	s_cbranch_vccnz .LBB1_17
.LBB1_5:                                ; =>This Inner Loop Header: Depth=1
	v_add_nc_u64_e32 v[20:21], s[28:29], v[0:1]
	s_mov_b32 s34, exec_lo
                                        ; implicit-def: $vgpr24_vgpr25
	s_delay_alu instid0(VALU_DEP_1)
	v_cmpx_lt_i64_e32 0, v[20:21]
	s_xor_b32 s34, exec_lo, s34
	s_cbranch_execnz .LBB1_8
; %bb.6:                                ;   in Loop: Header=BB1_5 Depth=1
	s_and_not1_saveexec_b32 s34, s34
	s_cbranch_execnz .LBB1_13
.LBB1_7:                                ;   in Loop: Header=BB1_5 Depth=1
	s_or_b32 exec_lo, exec_lo, s34
	s_delay_alu instid0(SALU_CYCLE_1)
	s_mov_b32 s34, exec_lo
	v_cmpx_ge_i64_e64 s[24:25], v[20:21]
	s_cbranch_execz .LBB1_4
	s_branch .LBB1_16
.LBB1_8:                                ;   in Loop: Header=BB1_5 Depth=1
	s_wait_loadcnt 0x0
	v_mov_b64_e32 v[24:25], 0xfff0000000000000
	s_mov_b32 s35, exec_lo
	v_cmpx_eq_u64_e32 1, v[20:21]
	s_cbranch_execz .LBB1_12
; %bb.9:                                ;   in Loop: Header=BB1_5 Depth=1
	v_mov_b64_e32 v[24:25], 0xfff0000000000000
	s_and_saveexec_b32 s36, s2
	s_cbranch_execz .LBB1_11
; %bb.10:                               ;   in Loop: Header=BB1_5 Depth=1
	global_load_b32 v24, v[12:13], off
	s_wait_loadcnt 0x0
	v_ashrrev_i32_e32 v25, 31, v24
	s_delay_alu instid0(VALU_DEP_1) | instskip(NEXT) | instid1(VALU_DEP_1)
	v_mul_u64_e32 v[24:25], s[8:9], v[24:25]
	v_lshl_add_u64 v[24:25], v[24:25], 3, v[14:15]
	global_load_b64 v[24:25], v[24:25], off
.LBB1_11:                               ;   in Loop: Header=BB1_5 Depth=1
	s_wait_xcnt 0x0
	s_or_b32 exec_lo, exec_lo, s36
.LBB1_12:                               ;   in Loop: Header=BB1_5 Depth=1
	s_delay_alu instid0(SALU_CYCLE_1)
	s_or_b32 exec_lo, exec_lo, s35
	s_and_not1_saveexec_b32 s34, s34
	s_cbranch_execz .LBB1_7
.LBB1_13:                               ;   in Loop: Header=BB1_5 Depth=1
	s_wait_loadcnt 0x0
	v_mov_b64_e32 v[24:25], 0xfff0000000000000
	s_mov_b32 s35, exec_lo
	v_cmpx_eq_u64_e32 0, v[20:21]
	s_cbranch_execz .LBB1_15
; %bb.14:                               ;   in Loop: Header=BB1_5 Depth=1
	global_load_b64 v[24:25], v[18:19], off
.LBB1_15:                               ;   in Loop: Header=BB1_5 Depth=1
	s_wait_xcnt 0x0
	s_or_b32 exec_lo, exec_lo, s35
	s_delay_alu instid0(SALU_CYCLE_1) | instskip(NEXT) | instid1(SALU_CYCLE_1)
	s_or_b32 exec_lo, exec_lo, s34
	s_mov_b32 s34, exec_lo
	v_cmpx_ge_i64_e64 s[24:25], v[20:21]
	s_cbranch_execz .LBB1_4
.LBB1_16:                               ;   in Loop: Header=BB1_5 Depth=1
	s_wait_loadcnt 0x0
	global_store_b64 v[16:17], v[24:25], off
	s_branch .LBB1_4
.LBB1_17:
	v_cmp_lt_i64_e64 s2, 0, v[4:5]
	s_and_not1_b32 vcc_lo, exec_lo, s3
	s_cbranch_vccnz .LBB1_45
; %bb.18:
	v_mov_b32_e32 v15, 0
	s_load_b32 s3, s[6:7], 0xc
	s_load_b64 s[26:27], s[0:1], 0x18
	s_lshl_b64 s[30:31], s[16:17], 3
	s_lshl_b64 s[34:35], s[4:5], 3
	s_wait_xcnt 0x0
	s_add_nc_u64 s[0:1], s[20:21], s[30:31]
	v_mov_b32_e32 v1, v15
	s_add_nc_u64 s[4:5], s[22:23], s[34:35]
	s_mov_b32 s29, 0
	v_lshl_add_u64 v[22:23], v[22:23], 3, s[4:5]
	s_mov_b64 s[36:37], 0x3fe5555555555555
	v_mul_u64_e32 v[20:21], s[18:19], v[0:1]
	v_add_nc_u64_e32 v[16:17], -2, v[0:1]
	v_add_nc_u64_e32 v[18:19], -1, v[0:1]
	s_mov_b64 s[22:23], 0x3fe62e42fefa39ef
	s_mov_b64 s[38:39], 0
	s_lshl_b64 s[8:9], s[8:9], 3
                                        ; implicit-def: $vgpr32_vgpr33
                                        ; implicit-def: $vgpr32_vgpr33
                                        ; implicit-def: $vgpr32_vgpr33
                                        ; implicit-def: $vgpr32_vgpr33
                                        ; implicit-def: $vgpr32_vgpr33
                                        ; implicit-def: $vgpr32_vgpr33
                                        ; implicit-def: $vgpr32_vgpr33
                                        ; implicit-def: $vgpr32_vgpr33
                                        ; implicit-def: $vgpr32_vgpr33
                                        ; implicit-def: $vgpr32_vgpr33
                                        ; implicit-def: $vgpr32_vgpr33
                                        ; implicit-def: $vgpr32_vgpr33
                                        ; implicit-def: $vgpr32_vgpr33
	s_delay_alu instid0(VALU_DEP_2) | instskip(NEXT) | instid1(VALU_DEP_2)
	v_mul_u64_e32 v[28:29], s[18:19], v[16:17]
	v_mul_u64_e32 v[30:31], s[18:19], v[18:19]
	v_lshlrev_b64_e32 v[16:17], 1, v[4:5]
	v_mov_b64_e32 v[18:19], 0x3e928af3fca7ab0c
	s_wait_kmcnt 0x0
	v_cmp_gt_i64_e64 s44, s[26:27], 1
	s_and_b32 s28, s3, 0xffff
	s_delay_alu instid0(SALU_CYCLE_1) | instskip(NEXT) | instid1(SALU_CYCLE_1)
	s_mul_u64 s[4:5], s[18:19], s[28:29]
	s_lshl_b64 s[40:41], s[4:5], 3
	v_lshlrev_b64_e32 v[26:27], 3, v[20:21]
	v_mov_b64_e32 v[20:21], 0x3fc385386b47b09a
	s_wait_loadcnt 0x0
	s_delay_alu instid0(VALU_DEP_2)
	v_add_nc_u64_e32 v[24:25], s[0:1], v[26:27]
	v_add_nc_u64_e32 v[26:27], s[20:21], v[26:27]
	v_lshl_add_u64 v[28:29], v[28:29], 3, s[20:21]
	v_lshl_add_u64 v[30:31], v[30:31], 3, s[20:21]
	s_branch .LBB1_20
.LBB1_19:                               ;   in Loop: Header=BB1_20 Depth=1
	s_add_nc_u64 s[38:39], s[38:39], s[28:29]
	v_add_nc_u64_e32 v[24:25], s[40:41], v[24:25]
	v_cmp_gt_i64_e64 s0, s[38:39], s[24:25]
	v_add_nc_u64_e32 v[26:27], s[40:41], v[26:27]
	v_add_nc_u64_e32 v[28:29], s[40:41], v[28:29]
	;; [unrolled: 1-line block ×3, first 2 shown]
	s_and_b32 vcc_lo, exec_lo, s0
	s_cbranch_vccnz .LBB1_45
.LBB1_20:                               ; =>This Loop Header: Depth=1
                                        ;     Child Loop BB1_31 Depth 2
	v_add_nc_u64_e32 v[34:35], s[38:39], v[0:1]
	v_mov_b64_e32 v[36:37], s[10:11]
	s_mov_b32 s45, 0
	s_delay_alu instid0(VALU_DEP_2) | instskip(SKIP_1) | instid1(SALU_CYCLE_1)
	v_cmp_le_i64_e64 s1, v[34:35], v[16:17]
	s_and_b32 s0, s2, s1
	s_and_saveexec_b32 s3, s0
	s_cbranch_execz .LBB1_28
; %bb.21:                               ;   in Loop: Header=BB1_20 Depth=1
	v_and_b32_e32 v14, 1, v34
	v_mov_b64_e32 v[36:37], s[10:11]
	s_delay_alu instid0(VALU_DEP_2)
	v_cmp_eq_u32_e32 vcc_lo, 1, v14
	s_and_saveexec_b32 s0, vcc_lo
	s_cbranch_execz .LBB1_23
; %bb.22:                               ;   in Loop: Header=BB1_20 Depth=1
	v_lshrrev_b64 v[32:33], 1, v[34:35]
	s_delay_alu instid0(VALU_DEP_1) | instskip(NEXT) | instid1(VALU_DEP_1)
	v_mul_u64_e32 v[32:33], s[12:13], v[32:33]
	v_lshl_add_u64 v[32:33], v[32:33], 2, v[12:13]
	global_load_b32 v36, v[32:33], off
	s_wait_loadcnt 0x0
	v_ashrrev_i32_e32 v37, 31, v36
.LBB1_23:                               ;   in Loop: Header=BB1_20 Depth=1
	s_wait_xcnt 0x0
	s_or_b32 exec_lo, exec_lo, s0
	s_mov_b32 s5, 0
	s_mov_b32 s4, exec_lo
	v_cmpx_lt_u64_e32 1, v[34:35]
	s_cbranch_execz .LBB1_27
; %bb.24:                               ;   in Loop: Header=BB1_20 Depth=1
	v_mov_b64_e32 v[32:33], s[10:11]
	s_and_saveexec_b32 s0, vcc_lo
	s_cbranch_execz .LBB1_26
; %bb.25:                               ;   in Loop: Header=BB1_20 Depth=1
	v_add_nc_u64_e32 v[32:33], -2, v[34:35]
	s_delay_alu instid0(VALU_DEP_1) | instskip(NEXT) | instid1(VALU_DEP_1)
	v_lshrrev_b32_e32 v14, 31, v33
	v_add_nc_u64_e32 v[32:33], v[32:33], v[14:15]
	s_delay_alu instid0(VALU_DEP_1) | instskip(NEXT) | instid1(VALU_DEP_1)
	v_lshrrev_b64 v[32:33], 1, v[32:33]
	v_mul_u64_e32 v[32:33], s[12:13], v[32:33]
	s_delay_alu instid0(VALU_DEP_1)
	v_lshl_add_u64 v[32:33], v[32:33], 2, v[12:13]
	global_load_b32 v32, v[32:33], off
	s_wait_loadcnt 0x0
	v_ashrrev_i32_e32 v33, 31, v32
.LBB1_26:                               ;   in Loop: Header=BB1_20 Depth=1
	s_or_b32 exec_lo, exec_lo, s0
	s_delay_alu instid0(VALU_DEP_1)
	v_cmp_ne_u64_e32 vcc_lo, v[32:33], v[36:37]
	s_and_b32 s5, vcc_lo, exec_lo
.LBB1_27:                               ;   in Loop: Header=BB1_20 Depth=1
	s_or_b32 exec_lo, exec_lo, s4
	s_delay_alu instid0(SALU_CYCLE_1)
	s_and_b32 s45, s5, exec_lo
.LBB1_28:                               ;   in Loop: Header=BB1_20 Depth=1
	s_or_b32 exec_lo, exec_lo, s3
	s_delay_alu instid0(SALU_CYCLE_1)
	s_and_not1_b32 vcc_lo, exec_lo, s44
	s_cbranch_vccnz .LBB1_19
; %bb.29:                               ;   in Loop: Header=BB1_20 Depth=1
	v_mad_nc_u64_u32 v[32:33], s8, v36, v[22:23]
	v_cmp_ge_i64_e32 vcc_lo, s[24:25], v[34:35]
	v_cmp_ne_u64_e64 s0, 0, v[34:35]
	v_mov_b64_e32 v[34:35], v[30:31]
	v_mov_b64_e32 v[38:39], v[26:27]
	;; [unrolled: 1-line block ×3, first 2 shown]
	s_mov_b64 s[42:43], 1
	s_xor_b32 s46, s1, -1
	v_mad_u32 v14, s9, v36, v33
	s_delay_alu instid0(VALU_DEP_1)
	v_mad_u32 v33, s8, v37, v14
	v_mov_b64_e32 v[36:37], v[28:29]
	s_branch .LBB1_31
.LBB1_30:                               ;   in Loop: Header=BB1_31 Depth=2
	s_wait_xcnt 0x0
	s_or_b32 exec_lo, exec_lo, s1
	v_add_nc_u64_e32 v[40:41], s[30:31], v[40:41]
	v_add_nc_u64_e32 v[38:39], s[30:31], v[38:39]
	;; [unrolled: 1-line block ×5, first 2 shown]
	s_add_nc_u64 s[42:43], s[42:43], 1
	s_delay_alu instid0(SALU_CYCLE_1)
	s_cmp_eq_u64 s[26:27], s[42:43]
	s_cbranch_scc1 .LBB1_19
.LBB1_31:                               ;   Parent Loop BB1_20 Depth=1
                                        ; =>  This Inner Loop Header: Depth=2
	v_cmp_ge_i64_e64 s1, s[42:43], v[6:7]
	s_mov_b32 s47, 0
	s_wait_storecnt 0x0
	s_barrier_signal -1
	s_barrier_wait -1
	s_or_b32 s1, s46, s1
	s_delay_alu instid0(SALU_CYCLE_1) | instskip(NEXT) | instid1(SALU_CYCLE_1)
	s_and_saveexec_b32 s3, s1
	s_xor_b32 s1, exec_lo, s3
	s_cbranch_execnz .LBB1_34
; %bb.32:                               ;   in Loop: Header=BB1_31 Depth=2
	s_or_saveexec_b32 s48, s1
	v_mov_b64_e32 v[42:43], 0xfff0000000000000
	s_xor_b32 exec_lo, exec_lo, s48
	s_cbranch_execnz .LBB1_35
.LBB1_33:                               ;   in Loop: Header=BB1_31 Depth=2
	s_or_b32 exec_lo, exec_lo, s48
	s_and_saveexec_b32 s1, s47
	s_cbranch_execz .LBB1_30
	s_branch .LBB1_44
.LBB1_34:                               ;   in Loop: Header=BB1_31 Depth=2
	s_and_b32 s47, vcc_lo, exec_lo
	s_or_saveexec_b32 s48, s1
	v_mov_b64_e32 v[42:43], 0xfff0000000000000
	s_xor_b32 exec_lo, exec_lo, s48
	s_cbranch_execz .LBB1_33
.LBB1_35:                               ;   in Loop: Header=BB1_31 Depth=2
	v_add_nc_u64_e32 v[42:43], v[38:39], v[10:11]
	v_mov_b64_e32 v[44:45], 0xfff0000000000000
	v_mov_b64_e32 v[46:47], 0xfff0000000000000
	global_load_b64 v[48:49], v[42:43], off
	s_wait_loadcnt 0x0
	v_mov_b64_e32 v[42:43], v[48:49]
	s_and_saveexec_b32 s3, s0
	s_cbranch_execz .LBB1_39
; %bb.36:                               ;   in Loop: Header=BB1_31 Depth=2
	v_add_nc_u64_e32 v[42:43], v[34:35], v[10:11]
	s_mov_b32 s4, exec_lo
	global_load_b64 v[46:47], v[42:43], off
	s_wait_xcnt 0x0
	v_mov_b64_e32 v[42:43], v[48:49]
	s_wait_loadcnt 0x0
	v_cmpx_gt_f64_e32 v[46:47], v[48:49]
; %bb.37:                               ;   in Loop: Header=BB1_31 Depth=2
	v_mov_b64_e32 v[42:43], v[46:47]
; %bb.38:                               ;   in Loop: Header=BB1_31 Depth=2
	s_or_b32 exec_lo, exec_lo, s4
.LBB1_39:                               ;   in Loop: Header=BB1_31 Depth=2
	s_delay_alu instid0(SALU_CYCLE_1)
	s_or_b32 exec_lo, exec_lo, s3
	s_and_saveexec_b32 s3, s45
	s_cbranch_execz .LBB1_43
; %bb.40:                               ;   in Loop: Header=BB1_31 Depth=2
	v_add_nc_u64_e32 v[44:45], v[36:37], v[10:11]
	s_mov_b32 s4, exec_lo
	global_load_b64 v[44:45], v[44:45], off
	s_wait_loadcnt 0x0
	v_cmpx_gt_f64_e32 v[44:45], v[42:43]
; %bb.41:                               ;   in Loop: Header=BB1_31 Depth=2
	v_mov_b64_e32 v[42:43], v[44:45]
; %bb.42:                               ;   in Loop: Header=BB1_31 Depth=2
	s_or_b32 exec_lo, exec_lo, s4
.LBB1_43:                               ;   in Loop: Header=BB1_31 Depth=2
	s_delay_alu instid0(SALU_CYCLE_1) | instskip(NEXT) | instid1(VALU_DEP_1)
	s_or_b32 exec_lo, exec_lo, s3
	v_cmp_neq_f64_e64 s1, 0xfff00000, v[42:43]
	s_or_b32 s47, s47, exec_lo
	v_dual_cndmask_b32 v43, 0, v43, s1 :: v_dual_cndmask_b32 v42, 0, v42, s1
	s_delay_alu instid0(VALU_DEP_1) | instskip(SKIP_1) | instid1(VALU_DEP_2)
	v_add_f64_e64 v[48:49], v[48:49], -v[42:43]
	v_add_f64_e64 v[46:47], v[46:47], -v[42:43]
	v_mul_f64_e32 v[50:51], 0x3ff71547652b82fe, v[48:49]
	s_delay_alu instid0(VALU_DEP_2)
	v_mul_f64_e32 v[52:53], 0x3ff71547652b82fe, v[46:47]
	v_cmp_nlt_f64_e64 s4, 0x40900000, v[46:47]
	v_cmp_nlt_f64_e64 s1, 0x40900000, v[48:49]
	v_cmp_ngt_f64_e64 s3, 0xc090cc00, v[48:49]
	v_cmp_ngt_f64_e64 s5, 0xc090cc00, v[46:47]
	v_rndne_f64_e32 v[50:51], v[50:51]
	v_rndne_f64_e32 v[52:53], v[52:53]
	s_delay_alu instid0(VALU_DEP_2) | instskip(NEXT) | instid1(VALU_DEP_2)
	v_fmamk_f64 v[56:57], v[50:51], 0xbfe62e42fefa39ef, v[48:49]
	v_fmamk_f64 v[58:59], v[52:53], 0xbfe62e42fefa39ef, v[46:47]
	v_cvt_i32_f64_e32 v14, v[50:51]
	s_delay_alu instid0(VALU_DEP_3) | instskip(NEXT) | instid1(VALU_DEP_3)
	v_fmac_f64_e32 v[56:57], 0xbc7abc9e3b39803f, v[50:51]
	v_fmac_f64_e32 v[58:59], 0xbc7abc9e3b39803f, v[52:53]
	s_delay_alu instid0(VALU_DEP_2) | instskip(NEXT) | instid1(VALU_DEP_2)
	v_fmamk_f64 v[62:63], v[56:57], 0x3e5ade156a5dcb37, v[18:19]
	v_fmamk_f64 v[64:65], v[58:59], 0x3e5ade156a5dcb37, v[18:19]
	s_delay_alu instid0(VALU_DEP_2) | instskip(NEXT) | instid1(VALU_DEP_2)
	v_fmaak_f64 v[62:63], v[56:57], v[62:63], 0x3ec71dee623fde64
	v_fmaak_f64 v[64:65], v[58:59], v[64:65], 0x3ec71dee623fde64
	s_delay_alu instid0(VALU_DEP_2) | instskip(NEXT) | instid1(VALU_DEP_2)
	v_fmaak_f64 v[62:63], v[56:57], v[62:63], 0x3efa01997c89e6b0
	v_fmaak_f64 v[64:65], v[58:59], v[64:65], 0x3efa01997c89e6b0
	;; [unrolled: 3-line block ×8, first 2 shown]
	s_delay_alu instid0(VALU_DEP_2) | instskip(NEXT) | instid1(VALU_DEP_2)
	v_fma_f64 v[62:63], v[56:57], v[62:63], 1.0
	v_fma_f64 v[64:65], v[58:59], v[64:65], 1.0
	s_delay_alu instid0(VALU_DEP_2) | instskip(SKIP_1) | instid1(VALU_DEP_3)
	v_fma_f64 v[50:51], v[56:57], v[62:63], 1.0
	v_cvt_i32_f64_e32 v56, v[52:53]
	v_fma_f64 v[52:53], v[58:59], v[64:65], 1.0
	global_load_b64 v[64:65], v[32:33], off
	v_ldexp_f64 v[50:51], v[50:51], v14
	v_ldexp_f64 v[52:53], v[52:53], v56
	s_delay_alu instid0(VALU_DEP_2) | instskip(SKIP_1) | instid1(VALU_DEP_2)
	v_cndmask_b32_e64 v14, 0x7ff00000, v51, s1
	s_and_b32 s1, s3, s1
	v_cndmask_b32_e64 v48, 0x7ff00000, v53, s4
	s_delay_alu instid0(VALU_DEP_1) | instskip(NEXT) | instid1(VALU_DEP_1)
	v_dual_add_f64 v[44:45], v[44:45], -v[42:43] :: v_dual_cndmask_b32 v47, 0, v48, s5
	v_mul_f64_e32 v[54:55], 0x3ff71547652b82fe, v[44:45]
	v_cmp_nlt_f64_e64 s6, 0x40900000, v[44:45]
	v_cmp_ngt_f64_e64 s7, 0xc090cc00, v[44:45]
	s_delay_alu instid0(VALU_DEP_3) | instskip(NEXT) | instid1(VALU_DEP_1)
	v_rndne_f64_e32 v[54:55], v[54:55]
	v_fmamk_f64 v[60:61], v[54:55], 0xbfe62e42fefa39ef, v[44:45]
	v_cvt_i32_f64_e32 v57, v[54:55]
	v_cndmask_b32_e64 v44, 0, v50, s1
	s_and_b32 s1, s5, s4
	s_delay_alu instid0(SALU_CYCLE_1) | instskip(SKIP_1) | instid1(VALU_DEP_4)
	v_cndmask_b32_e64 v46, 0, v52, s1
	s_and_b32 s1, s7, s6
	v_fmac_f64_e32 v[60:61], 0xbc7abc9e3b39803f, v[54:55]
	s_delay_alu instid0(VALU_DEP_1) | instskip(NEXT) | instid1(VALU_DEP_1)
	v_fmamk_f64 v[66:67], v[60:61], 0x3e5ade156a5dcb37, v[18:19]
	v_fmaak_f64 v[66:67], v[60:61], v[66:67], 0x3ec71dee623fde64
	s_delay_alu instid0(VALU_DEP_1) | instskip(NEXT) | instid1(VALU_DEP_1)
	v_fmaak_f64 v[66:67], v[60:61], v[66:67], 0x3efa01997c89e6b0
	v_fmaak_f64 v[66:67], v[60:61], v[66:67], 0x3f2a01a014761f6e
	s_delay_alu instid0(VALU_DEP_1) | instskip(NEXT) | instid1(VALU_DEP_1)
	v_fmaak_f64 v[66:67], v[60:61], v[66:67], 0x3f56c16c1852b7b0
	;; [unrolled: 3-line block ×4, first 2 shown]
	v_fma_f64 v[66:67], v[60:61], v[66:67], 1.0
	s_delay_alu instid0(VALU_DEP_1) | instskip(NEXT) | instid1(VALU_DEP_1)
	v_fma_f64 v[54:55], v[60:61], v[66:67], 1.0
	v_ldexp_f64 v[54:55], v[54:55], v57
	s_delay_alu instid0(VALU_DEP_1) | instskip(SKIP_1) | instid1(VALU_DEP_1)
	v_cndmask_b32_e64 v49, 0x7ff00000, v55, s6
	v_cndmask_b32_e64 v45, 0, v14, s3
	v_dual_add_f64 v[44:45], v[44:45], v[46:47] :: v_dual_cndmask_b32 v47, 0, v49, s7
	s_delay_alu instid0(VALU_DEP_4) | instskip(NEXT) | instid1(VALU_DEP_1)
	v_cndmask_b32_e64 v46, 0, v54, s1
	v_add_f64_e32 v[44:45], v[46:47], v[44:45]
	s_delay_alu instid0(VALU_DEP_1) | instskip(NEXT) | instid1(VALU_DEP_1)
	v_frexp_mant_f64_e32 v[46:47], v[44:45]
	v_cmp_gt_f64_e64 s1, s[36:37], v[46:47]
	s_delay_alu instid0(VALU_DEP_1) | instskip(NEXT) | instid1(VALU_DEP_1)
	v_cndmask_b32_e64 v14, 0, 1, s1
	v_ldexp_f64 v[46:47], v[46:47], v14
	v_frexp_exp_i32_f64_e32 v14, v[44:45]
	s_delay_alu instid0(VALU_DEP_1) | instskip(SKIP_1) | instid1(VALU_DEP_4)
	v_subrev_co_ci_u32_e64 v14, null, 0, v14, s1
	v_cmp_class_f64_e64 s1, v[44:45], 0x204
	v_add_f64_e32 v[48:49], 1.0, v[46:47]
	v_add_f64_e32 v[54:55], -1.0, v[46:47]
	s_delay_alu instid0(VALU_DEP_2) | instskip(SKIP_1) | instid1(VALU_DEP_1)
	v_rcp_f64_e32 v[50:51], v[48:49]
	v_add_f64_e32 v[56:57], -1.0, v[48:49]
	v_add_f64_e64 v[46:47], v[46:47], -v[56:57]
	s_delay_alu instid0(TRANS32_DEP_1) | instskip(NEXT) | instid1(VALU_DEP_1)
	v_fma_f64 v[52:53], -v[48:49], v[50:51], 1.0
	v_fmac_f64_e32 v[50:51], v[52:53], v[50:51]
	s_delay_alu instid0(VALU_DEP_1) | instskip(NEXT) | instid1(VALU_DEP_1)
	v_fma_f64 v[52:53], -v[48:49], v[50:51], 1.0
	v_fmac_f64_e32 v[50:51], v[52:53], v[50:51]
	s_delay_alu instid0(VALU_DEP_1) | instskip(NEXT) | instid1(VALU_DEP_1)
	v_mul_f64_e32 v[52:53], v[54:55], v[50:51]
	v_mul_f64_e32 v[58:59], v[48:49], v[52:53]
	s_delay_alu instid0(VALU_DEP_1) | instskip(NEXT) | instid1(VALU_DEP_1)
	v_fma_f64 v[48:49], v[52:53], v[48:49], -v[58:59]
	v_fmac_f64_e32 v[48:49], v[52:53], v[46:47]
	s_delay_alu instid0(VALU_DEP_1) | instskip(NEXT) | instid1(VALU_DEP_1)
	v_add_f64_e32 v[46:47], v[58:59], v[48:49]
	v_add_f64_e64 v[56:57], v[54:55], -v[46:47]
	v_add_f64_e64 v[58:59], v[46:47], -v[58:59]
	s_delay_alu instid0(VALU_DEP_2) | instskip(NEXT) | instid1(VALU_DEP_2)
	v_add_f64_e64 v[54:55], v[54:55], -v[56:57]
	v_add_f64_e64 v[48:49], v[58:59], -v[48:49]
	s_delay_alu instid0(VALU_DEP_2) | instskip(NEXT) | instid1(VALU_DEP_1)
	v_add_f64_e64 v[46:47], v[54:55], -v[46:47]
	v_add_f64_e32 v[46:47], v[48:49], v[46:47]
	s_delay_alu instid0(VALU_DEP_1) | instskip(NEXT) | instid1(VALU_DEP_1)
	v_add_f64_e32 v[46:47], v[56:57], v[46:47]
	v_mul_f64_e32 v[46:47], v[50:51], v[46:47]
	s_delay_alu instid0(VALU_DEP_1) | instskip(NEXT) | instid1(VALU_DEP_1)
	v_add_f64_e32 v[48:49], v[52:53], v[46:47]
	v_mul_f64_e32 v[50:51], v[48:49], v[48:49]
	s_delay_alu instid0(VALU_DEP_1) | instskip(SKIP_1) | instid1(VALU_DEP_2)
	v_fmamk_f64 v[54:55], v[50:51], 0x3fc3ab76bf559e2b, v[20:21]
	v_mul_f64_e32 v[56:57], v[48:49], v[50:51]
	v_fmaak_f64 v[54:55], v[50:51], v[54:55], 0x3fc7474dd7f4df2e
	s_delay_alu instid0(VALU_DEP_1) | instskip(NEXT) | instid1(VALU_DEP_1)
	v_fmaak_f64 v[54:55], v[50:51], v[54:55], 0x3fcc71c016291751
	v_fmaak_f64 v[54:55], v[50:51], v[54:55], 0x3fd249249b27acf1
	s_delay_alu instid0(VALU_DEP_1) | instskip(NEXT) | instid1(VALU_DEP_1)
	v_fmaak_f64 v[54:55], v[50:51], v[54:55], 0x3fd99999998ef7b6
	v_fmaak_f64 v[50:51], v[50:51], v[54:55], 0x3fe5555555555780
	v_ldexp_f64 v[54:55], v[48:49], 1
	v_add_f64_e64 v[48:49], v[48:49], -v[52:53]
	s_delay_alu instid0(VALU_DEP_3) | instskip(SKIP_1) | instid1(VALU_DEP_3)
	v_mul_f64_e32 v[50:51], v[56:57], v[50:51]
	v_cvt_f64_i32_e32 v[56:57], v14
	v_add_f64_e64 v[46:47], v[46:47], -v[48:49]
	s_delay_alu instid0(VALU_DEP_3) | instskip(NEXT) | instid1(VALU_DEP_3)
	v_add_f64_e32 v[52:53], v[54:55], v[50:51]
	v_mul_f64_e32 v[58:59], 0x3fe62e42fefa39ef, v[56:57]
	s_delay_alu instid0(VALU_DEP_3) | instskip(NEXT) | instid1(VALU_DEP_3)
	v_ldexp_f64 v[46:47], v[46:47], 1
	v_add_f64_e64 v[48:49], v[52:53], -v[54:55]
	s_delay_alu instid0(VALU_DEP_3) | instskip(NEXT) | instid1(VALU_DEP_2)
	v_fma_f64 v[54:55], v[56:57], s[22:23], -v[58:59]
	v_add_f64_e64 v[48:49], v[50:51], -v[48:49]
	s_delay_alu instid0(VALU_DEP_2) | instskip(NEXT) | instid1(VALU_DEP_2)
	v_fmac_f64_e32 v[54:55], 0x3c7abc9e3b39803f, v[56:57]
	v_add_f64_e32 v[46:47], v[46:47], v[48:49]
	s_delay_alu instid0(VALU_DEP_2) | instskip(NEXT) | instid1(VALU_DEP_2)
	v_add_f64_e32 v[48:49], v[58:59], v[54:55]
	v_add_f64_e32 v[50:51], v[52:53], v[46:47]
	s_delay_alu instid0(VALU_DEP_2) | instskip(NEXT) | instid1(VALU_DEP_2)
	v_add_f64_e64 v[58:59], v[48:49], -v[58:59]
	v_add_f64_e32 v[56:57], v[48:49], v[50:51]
	v_add_f64_e64 v[52:53], v[50:51], -v[52:53]
	s_delay_alu instid0(VALU_DEP_3) | instskip(NEXT) | instid1(VALU_DEP_3)
	v_add_f64_e64 v[54:55], v[54:55], -v[58:59]
	v_add_f64_e64 v[60:61], v[56:57], -v[48:49]
	s_delay_alu instid0(VALU_DEP_3) | instskip(NEXT) | instid1(VALU_DEP_2)
	v_add_f64_e64 v[46:47], v[46:47], -v[52:53]
	v_add_f64_e64 v[62:63], v[56:57], -v[60:61]
	;; [unrolled: 1-line block ×3, first 2 shown]
	s_delay_alu instid0(VALU_DEP_3) | instskip(NEXT) | instid1(VALU_DEP_3)
	v_add_f64_e32 v[52:53], v[54:55], v[46:47]
	v_add_f64_e64 v[48:49], v[48:49], -v[62:63]
	s_delay_alu instid0(VALU_DEP_1) | instskip(NEXT) | instid1(VALU_DEP_3)
	v_add_f64_e32 v[48:49], v[50:51], v[48:49]
	v_add_f64_e64 v[50:51], v[52:53], -v[54:55]
	s_delay_alu instid0(VALU_DEP_2) | instskip(NEXT) | instid1(VALU_DEP_2)
	v_add_f64_e32 v[48:49], v[52:53], v[48:49]
	v_add_f64_e64 v[52:53], v[52:53], -v[50:51]
	v_add_f64_e64 v[46:47], v[46:47], -v[50:51]
	s_delay_alu instid0(VALU_DEP_3) | instskip(NEXT) | instid1(VALU_DEP_3)
	v_add_f64_e32 v[58:59], v[56:57], v[48:49]
	v_add_f64_e64 v[50:51], v[54:55], -v[52:53]
	s_delay_alu instid0(VALU_DEP_2) | instskip(NEXT) | instid1(VALU_DEP_2)
	v_add_f64_e64 v[52:53], v[58:59], -v[56:57]
	v_add_f64_e32 v[46:47], v[46:47], v[50:51]
	s_delay_alu instid0(VALU_DEP_2) | instskip(NEXT) | instid1(VALU_DEP_1)
	v_add_f64_e64 v[48:49], v[48:49], -v[52:53]
	v_add_f64_e32 v[46:47], v[46:47], v[48:49]
	s_delay_alu instid0(VALU_DEP_1) | instskip(NEXT) | instid1(VALU_DEP_1)
	v_add_f64_e32 v[46:47], v[58:59], v[46:47]
	v_dual_cndmask_b32 v14, v46, v44, s1 :: v_dual_cndmask_b32 v46, v47, v45, s1
	v_cmp_ngt_f64_e64 s1, 0, v[44:45]
	s_delay_alu instid0(VALU_DEP_1) | instskip(SKIP_1) | instid1(VALU_DEP_1)
	v_cndmask_b32_e64 v47, 0x7ff80000, v46, s1
	v_cmp_nge_f64_e64 s1, 0, v[44:45]
	v_cndmask_b32_e64 v46, 0, v14, s1
	v_cmp_neq_f64_e64 s1, 0, v[44:45]
	s_delay_alu instid0(VALU_DEP_1) | instskip(NEXT) | instid1(VALU_DEP_1)
	v_cndmask_b32_e64 v47, 0xfff00000, v47, s1
	v_add_f64_e32 v[42:43], v[42:43], v[46:47]
	s_wait_loadcnt 0x0
	s_delay_alu instid0(VALU_DEP_1)
	v_add_f64_e32 v[42:43], v[64:65], v[42:43]
	s_or_b32 exec_lo, exec_lo, s48
	s_and_saveexec_b32 s1, s47
	s_cbranch_execz .LBB1_30
.LBB1_44:                               ;   in Loop: Header=BB1_31 Depth=2
	v_add_nc_u64_e32 v[44:45], v[40:41], v[10:11]
	global_store_b64 v[44:45], v[42:43], off
	s_branch .LBB1_30
.LBB1_45:
	s_mov_b32 s3, exec_lo
	s_wait_loadcnt 0x0
	s_wait_storecnt 0x0
	s_barrier_signal -1
	s_barrier_wait -1
	v_cmpx_eq_u32_e32 0, v0
	s_cbranch_execz .LBB1_49
; %bb.46:
	v_add_nc_u64_e32 v[0:1], -1, v[6:7]
	v_mul_u64_e32 v[10:11], s[18:19], v[4:5]
	v_lshl_add_u64 v[6:7], v[8:9], 3, s[20:21]
	v_cmp_lt_i64_e32 vcc_lo, 0, v[4:5]
	v_mov_b64_e32 v[4:5], 0xfff0000000000000
	v_mul_u64_e32 v[0:1], s[16:17], v[0:1]
	s_delay_alu instid0(VALU_DEP_1) | instskip(NEXT) | instid1(VALU_DEP_1)
	v_lshl_add_u64 v[0:1], v[0:1], 3, v[6:7]
	v_lshl_add_u64 v[6:7], v[10:11], 4, v[0:1]
	global_load_b64 v[6:7], v[6:7], off
	s_wait_xcnt 0x0
	s_and_saveexec_b32 s0, vcc_lo
	s_cbranch_execz .LBB1_48
; %bb.47:
	v_lshlrev_b64_e32 v[4:5], 1, v[10:11]
	s_delay_alu instid0(VALU_DEP_1) | instskip(NEXT) | instid1(VALU_DEP_1)
	v_sub_nc_u64_e64 v[4:5], v[4:5], s[18:19]
	v_lshl_add_u64 v[0:1], v[4:5], 3, v[0:1]
	global_load_b64 v[4:5], v[0:1], off
.LBB1_48:
	s_wait_xcnt 0x0
	s_or_b32 exec_lo, exec_lo, s0
	s_wait_loadcnt 0x0
	v_cmp_gt_f64_e32 vcc_lo, v[6:7], v[4:5]
	v_mov_b64_e32 v[16:17], 0x3e928af3fca7ab0c
	v_mov_b64_e32 v[20:21], 0x3ec71dee623fde64
	v_lshl_add_u64 v[2:3], v[2:3], 3, s[14:15]
	v_dual_cndmask_b32 v1, v5, v7 :: v_dual_cndmask_b32 v0, v4, v6
	s_delay_alu instid0(VALU_DEP_1) | instskip(SKIP_1) | instid1(VALU_DEP_1)
	v_cmp_neq_f64_e32 vcc_lo, 0xfff00000, v[0:1]
	v_dual_cndmask_b32 v1, 0, v1 :: v_dual_cndmask_b32 v0, 0, v0
	v_add_f64_e64 v[6:7], v[6:7], -v[0:1]
	v_add_f64_e64 v[4:5], v[4:5], -v[0:1]
	s_delay_alu instid0(VALU_DEP_2) | instskip(NEXT) | instid1(VALU_DEP_2)
	v_mul_f64_e32 v[8:9], 0x3ff71547652b82fe, v[6:7]
	v_mul_f64_e32 v[10:11], 0x3ff71547652b82fe, v[4:5]
	v_cmp_nlt_f64_e32 vcc_lo, 0x40900000, v[6:7]
	v_cmp_nlt_f64_e64 s1, 0x40900000, v[4:5]
	v_cmp_ngt_f64_e64 s0, 0xc090cc00, v[6:7]
	v_cmp_ngt_f64_e64 s2, 0xc090cc00, v[4:5]
	v_rndne_f64_e32 v[8:9], v[8:9]
	v_rndne_f64_e32 v[10:11], v[10:11]
	s_delay_alu instid0(VALU_DEP_2) | instskip(NEXT) | instid1(VALU_DEP_2)
	v_fmamk_f64 v[12:13], v[8:9], 0xbfe62e42fefa39ef, v[6:7]
	v_fmamk_f64 v[14:15], v[10:11], 0xbfe62e42fefa39ef, v[4:5]
	s_delay_alu instid0(VALU_DEP_2) | instskip(NEXT) | instid1(VALU_DEP_2)
	v_fmac_f64_e32 v[12:13], 0xbc7abc9e3b39803f, v[8:9]
	v_fmac_f64_e32 v[14:15], 0xbc7abc9e3b39803f, v[10:11]
	s_delay_alu instid0(VALU_DEP_2) | instskip(NEXT) | instid1(VALU_DEP_2)
	v_fmamk_f64 v[18:19], v[12:13], 0x3e5ade156a5dcb37, v[16:17]
	v_fmac_f64_e32 v[16:17], 0x3e5ade156a5dcb37, v[14:15]
	s_delay_alu instid0(VALU_DEP_1) | instskip(SKIP_1) | instid1(VALU_DEP_1)
	v_fmac_f64_e32 v[20:21], v[14:15], v[16:17]
	v_mov_b64_e32 v[16:17], 0x3efa01997c89e6b0
	v_fmac_f64_e32 v[16:17], v[14:15], v[20:21]
	v_mov_b64_e32 v[20:21], 0x3f2a01a014761f6e
	s_delay_alu instid0(VALU_DEP_1) | instskip(SKIP_1) | instid1(VALU_DEP_1)
	v_fmac_f64_e32 v[20:21], v[14:15], v[16:17]
	v_mov_b64_e32 v[16:17], 0x3f56c16c1852b7b0
	v_fmac_f64_e32 v[16:17], v[14:15], v[20:21]
	v_mov_b64_e32 v[20:21], 0x3f81111111122322
	;; [unrolled: 5-line block ×3, first 2 shown]
	s_delay_alu instid0(VALU_DEP_1) | instskip(SKIP_2) | instid1(VALU_DEP_2)
	v_fmac_f64_e32 v[20:21], v[14:15], v[16:17]
	v_fmaak_f64 v[16:17], v[12:13], v[18:19], 0x3ec71dee623fde64
	v_mov_b64_e32 v[18:19], 0x3fe000000000000b
	v_fmaak_f64 v[16:17], v[12:13], v[16:17], 0x3efa01997c89e6b0
	s_delay_alu instid0(VALU_DEP_1) | instskip(NEXT) | instid1(VALU_DEP_1)
	v_fmaak_f64 v[16:17], v[12:13], v[16:17], 0x3f2a01a014761f6e
	v_fmaak_f64 v[16:17], v[12:13], v[16:17], 0x3f56c16c1852b7b0
	s_delay_alu instid0(VALU_DEP_1) | instskip(SKIP_2) | instid1(VALU_DEP_3)
	v_fmaak_f64 v[16:17], v[12:13], v[16:17], 0x3f81111111122322
	v_fmac_f64_e32 v[18:19], v[14:15], v[20:21]
	v_cvt_i32_f64_e32 v20, v[8:9]
	v_fmaak_f64 v[16:17], v[12:13], v[16:17], 0x3fa55555555502a1
	s_delay_alu instid0(VALU_DEP_1) | instskip(NEXT) | instid1(VALU_DEP_1)
	v_fmaak_f64 v[16:17], v[12:13], v[16:17], 0x3fc5555555555511
	v_fmaak_f64 v[16:17], v[12:13], v[16:17], 0x3fe000000000000b
	s_delay_alu instid0(VALU_DEP_1) | instskip(SKIP_1) | instid1(VALU_DEP_2)
	v_fma_f64 v[16:17], v[12:13], v[16:17], 1.0
	v_fma_f64 v[18:19], v[14:15], v[18:19], 1.0
	;; [unrolled: 1-line block ×3, first 2 shown]
	v_cvt_i32_f64_e32 v12, v[10:11]
	s_delay_alu instid0(VALU_DEP_3) | instskip(NEXT) | instid1(VALU_DEP_3)
	v_fma_f64 v[10:11], v[14:15], v[18:19], 1.0
	v_ldexp_f64 v[8:9], v[8:9], v20
	s_delay_alu instid0(VALU_DEP_2) | instskip(NEXT) | instid1(VALU_DEP_2)
	v_ldexp_f64 v[10:11], v[10:11], v12
	v_cndmask_b32_e32 v9, 0x7ff00000, v9, vcc_lo
	s_and_b32 vcc_lo, s0, vcc_lo
	s_delay_alu instid0(VALU_DEP_3) | instskip(SKIP_1) | instid1(VALU_DEP_2)
	v_cndmask_b32_e32 v4, 0, v8, vcc_lo
	s_and_b32 vcc_lo, s2, s1
	v_cndmask_b32_e64 v5, 0, v9, s0
	s_delay_alu instid0(VALU_DEP_4) | instskip(SKIP_1) | instid1(VALU_DEP_1)
	v_cndmask_b32_e64 v6, 0x7ff00000, v11, s1
	s_mov_b64 s[0:1], 0x3fe5555555555555
	v_cndmask_b32_e64 v7, 0, v6, s2
	v_cndmask_b32_e32 v6, 0, v10, vcc_lo
	s_delay_alu instid0(VALU_DEP_1) | instskip(NEXT) | instid1(VALU_DEP_1)
	v_add_f64_e32 v[4:5], v[4:5], v[6:7]
	v_frexp_mant_f64_e32 v[6:7], v[4:5]
	s_delay_alu instid0(VALU_DEP_1) | instskip(SKIP_2) | instid1(VALU_DEP_1)
	v_cmp_gt_f64_e32 vcc_lo, s[0:1], v[6:7]
	s_mov_b64 s[0:1], 0x3fc3ab76bf559e2b
	v_cndmask_b32_e64 v8, 0, 1, vcc_lo
	v_ldexp_f64 v[6:7], v[6:7], v8
	s_delay_alu instid0(VALU_DEP_1) | instskip(SKIP_1) | instid1(VALU_DEP_2)
	v_add_f64_e32 v[8:9], 1.0, v[6:7]
	v_add_f64_e32 v[14:15], -1.0, v[6:7]
	v_rcp_f64_e32 v[10:11], v[8:9]
	v_add_f64_e32 v[16:17], -1.0, v[8:9]
	s_delay_alu instid0(VALU_DEP_1) | instskip(NEXT) | instid1(TRANS32_DEP_1)
	v_add_f64_e64 v[6:7], v[6:7], -v[16:17]
	v_fma_f64 v[12:13], -v[8:9], v[10:11], 1.0
	s_delay_alu instid0(VALU_DEP_1) | instskip(NEXT) | instid1(VALU_DEP_1)
	v_fmac_f64_e32 v[10:11], v[12:13], v[10:11]
	v_fma_f64 v[12:13], -v[8:9], v[10:11], 1.0
	s_delay_alu instid0(VALU_DEP_1) | instskip(NEXT) | instid1(VALU_DEP_1)
	v_fmac_f64_e32 v[10:11], v[12:13], v[10:11]
	v_mul_f64_e32 v[12:13], v[14:15], v[10:11]
	s_delay_alu instid0(VALU_DEP_1) | instskip(NEXT) | instid1(VALU_DEP_1)
	v_mul_f64_e32 v[18:19], v[8:9], v[12:13]
	v_fma_f64 v[8:9], v[12:13], v[8:9], -v[18:19]
	s_delay_alu instid0(VALU_DEP_1) | instskip(NEXT) | instid1(VALU_DEP_1)
	v_fmac_f64_e32 v[8:9], v[12:13], v[6:7]
	v_add_f64_e32 v[6:7], v[18:19], v[8:9]
	s_delay_alu instid0(VALU_DEP_1) | instskip(SKIP_1) | instid1(VALU_DEP_2)
	v_add_f64_e64 v[16:17], v[14:15], -v[6:7]
	v_add_f64_e64 v[18:19], v[6:7], -v[18:19]
	;; [unrolled: 1-line block ×3, first 2 shown]
	s_delay_alu instid0(VALU_DEP_2) | instskip(NEXT) | instid1(VALU_DEP_2)
	v_add_f64_e64 v[8:9], v[18:19], -v[8:9]
	v_add_f64_e64 v[6:7], v[14:15], -v[6:7]
	s_delay_alu instid0(VALU_DEP_1) | instskip(NEXT) | instid1(VALU_DEP_1)
	v_add_f64_e32 v[6:7], v[8:9], v[6:7]
	v_add_f64_e32 v[6:7], v[16:17], v[6:7]
	s_delay_alu instid0(VALU_DEP_1) | instskip(NEXT) | instid1(VALU_DEP_1)
	v_mul_f64_e32 v[6:7], v[10:11], v[6:7]
	v_add_f64_e32 v[8:9], v[12:13], v[6:7]
	s_delay_alu instid0(VALU_DEP_1) | instskip(NEXT) | instid1(VALU_DEP_1)
	v_mul_f64_e32 v[10:11], v[8:9], v[8:9]
	v_fmaak_f64 v[14:15], s[0:1], v[10:11], 0x3fc385386b47b09a
	v_mul_f64_e32 v[16:17], v[8:9], v[10:11]
	s_mov_b64 s[0:1], 0x3fe62e42fefa39ef
	s_delay_alu instid0(VALU_DEP_2) | instskip(NEXT) | instid1(VALU_DEP_1)
	v_fmaak_f64 v[14:15], v[10:11], v[14:15], 0x3fc7474dd7f4df2e
	v_fmaak_f64 v[14:15], v[10:11], v[14:15], 0x3fcc71c016291751
	s_delay_alu instid0(VALU_DEP_1) | instskip(NEXT) | instid1(VALU_DEP_1)
	v_fmaak_f64 v[14:15], v[10:11], v[14:15], 0x3fd249249b27acf1
	v_fmaak_f64 v[14:15], v[10:11], v[14:15], 0x3fd99999998ef7b6
	s_delay_alu instid0(VALU_DEP_1) | instskip(SKIP_2) | instid1(VALU_DEP_3)
	v_fmaak_f64 v[10:11], v[10:11], v[14:15], 0x3fe5555555555780
	v_ldexp_f64 v[14:15], v[8:9], 1
	v_add_f64_e64 v[8:9], v[8:9], -v[12:13]
	v_mul_f64_e32 v[10:11], v[16:17], v[10:11]
	v_frexp_exp_i32_f64_e32 v16, v[4:5]
	s_delay_alu instid0(VALU_DEP_3) | instskip(NEXT) | instid1(VALU_DEP_3)
	v_add_f64_e64 v[6:7], v[6:7], -v[8:9]
	v_add_f64_e32 v[12:13], v[14:15], v[10:11]
	s_delay_alu instid0(VALU_DEP_3) | instskip(SKIP_1) | instid1(VALU_DEP_2)
	v_subrev_co_ci_u32_e64 v16, null, 0, v16, vcc_lo
	v_cmp_class_f64_e64 vcc_lo, v[4:5], 0x204
	v_cvt_f64_i32_e32 v[16:17], v16
	v_ldexp_f64 v[6:7], v[6:7], 1
	v_add_f64_e64 v[8:9], v[12:13], -v[14:15]
	s_delay_alu instid0(VALU_DEP_3) | instskip(NEXT) | instid1(VALU_DEP_2)
	v_mul_f64_e32 v[14:15], 0x3fe62e42fefa39ef, v[16:17]
	v_add_f64_e64 v[8:9], v[10:11], -v[8:9]
	s_delay_alu instid0(VALU_DEP_2) | instskip(NEXT) | instid1(VALU_DEP_2)
	v_fma_f64 v[10:11], v[16:17], s[0:1], -v[14:15]
	v_add_f64_e32 v[6:7], v[6:7], v[8:9]
	s_delay_alu instid0(VALU_DEP_2) | instskip(NEXT) | instid1(VALU_DEP_1)
	v_fmamk_f64 v[8:9], v[16:17], 0x3c7abc9e3b39803f, v[10:11]
	v_add_f64_e32 v[10:11], v[14:15], v[8:9]
	s_delay_alu instid0(VALU_DEP_3) | instskip(NEXT) | instid1(VALU_DEP_2)
	v_add_f64_e32 v[16:17], v[12:13], v[6:7]
	v_add_f64_e64 v[14:15], v[10:11], -v[14:15]
	s_delay_alu instid0(VALU_DEP_2) | instskip(SKIP_1) | instid1(VALU_DEP_3)
	v_add_f64_e32 v[18:19], v[10:11], v[16:17]
	v_add_f64_e64 v[12:13], v[16:17], -v[12:13]
	v_add_f64_e64 v[8:9], v[8:9], -v[14:15]
	s_delay_alu instid0(VALU_DEP_3) | instskip(NEXT) | instid1(VALU_DEP_3)
	v_add_f64_e64 v[20:21], v[18:19], -v[10:11]
	v_add_f64_e64 v[6:7], v[6:7], -v[12:13]
	s_delay_alu instid0(VALU_DEP_2) | instskip(SKIP_1) | instid1(VALU_DEP_3)
	v_add_f64_e64 v[22:23], v[18:19], -v[20:21]
	v_add_f64_e64 v[12:13], v[16:17], -v[20:21]
	v_add_f64_e32 v[14:15], v[8:9], v[6:7]
	s_delay_alu instid0(VALU_DEP_3) | instskip(NEXT) | instid1(VALU_DEP_1)
	v_add_f64_e64 v[10:11], v[10:11], -v[22:23]
	v_add_f64_e32 v[10:11], v[12:13], v[10:11]
	s_delay_alu instid0(VALU_DEP_3) | instskip(NEXT) | instid1(VALU_DEP_2)
	v_add_f64_e64 v[12:13], v[14:15], -v[8:9]
	v_add_f64_e32 v[10:11], v[14:15], v[10:11]
	s_delay_alu instid0(VALU_DEP_2) | instskip(SKIP_1) | instid1(VALU_DEP_3)
	v_add_f64_e64 v[14:15], v[14:15], -v[12:13]
	v_add_f64_e64 v[6:7], v[6:7], -v[12:13]
	v_add_f64_e32 v[16:17], v[18:19], v[10:11]
	s_delay_alu instid0(VALU_DEP_3) | instskip(NEXT) | instid1(VALU_DEP_2)
	v_add_f64_e64 v[8:9], v[8:9], -v[14:15]
	v_add_f64_e64 v[12:13], v[16:17], -v[18:19]
	s_delay_alu instid0(VALU_DEP_2) | instskip(NEXT) | instid1(VALU_DEP_2)
	v_add_f64_e32 v[6:7], v[6:7], v[8:9]
	v_add_f64_e64 v[8:9], v[10:11], -v[12:13]
	s_delay_alu instid0(VALU_DEP_1) | instskip(NEXT) | instid1(VALU_DEP_1)
	v_add_f64_e32 v[6:7], v[6:7], v[8:9]
	v_add_f64_e32 v[6:7], v[16:17], v[6:7]
	s_delay_alu instid0(VALU_DEP_1) | instskip(SKIP_1) | instid1(VALU_DEP_2)
	v_dual_cndmask_b32 v6, v6, v4 :: v_dual_cndmask_b32 v7, v7, v5
	v_cmp_ngt_f64_e32 vcc_lo, 0, v[4:5]
	v_cndmask_b32_e32 v7, 0x7ff80000, v7, vcc_lo
	v_cmp_nge_f64_e32 vcc_lo, 0, v[4:5]
	s_delay_alu instid0(VALU_DEP_4) | instskip(SKIP_1) | instid1(VALU_DEP_4)
	v_cndmask_b32_e32 v6, 0, v6, vcc_lo
	v_cmp_neq_f64_e32 vcc_lo, 0, v[4:5]
	v_cndmask_b32_e32 v7, 0xfff00000, v7, vcc_lo
	s_delay_alu instid0(VALU_DEP_1) | instskip(NEXT) | instid1(VALU_DEP_1)
	v_add_f64_e32 v[0:1], v[0:1], v[6:7]
	v_xor_b32_e32 v1, 0x80000000, v1
	global_store_b64 v[2:3], v[0:1], off
.LBB1_49:
	s_wait_xcnt 0x0
	s_or_b32 exec_lo, exec_lo, s3
                                        ; implicit-def: $vgpr0
                                        ; implicit-def: $vgpr2_vgpr3
                                        ; implicit-def: $vgpr4_vgpr5
.LBB1_50:
	s_and_not1_saveexec_b32 s0, s33
	s_cbranch_execz .LBB1_53
; %bb.51:
	v_and_b32_e32 v0, 0x3ff, v0
	s_delay_alu instid0(VALU_DEP_1)
	v_cmp_eq_u32_e32 vcc_lo, 0, v0
	s_and_b32 exec_lo, exec_lo, vcc_lo
	s_cbranch_execz .LBB1_53
; %bb.52:
	s_wait_loadcnt 0x0
	v_cmp_eq_u64_e32 vcc_lo, 0, v[4:5]
	v_bfrev_b32_e32 v6, 1
	v_lshl_add_u64 v[0:1], v[2:3], 3, s[14:15]
	s_delay_alu instid0(VALU_DEP_2)
	v_dual_mov_b32 v2, 0 :: v_dual_cndmask_b32 v3, 0x7ff00000, v6
	global_store_b64 v[0:1], v[2:3], off
.LBB1_53:
	s_sendmsg sendmsg(MSG_DEALLOC_VGPRS)
	s_endpgm
	.section	.rodata,"a",@progbits
	.p2align	6, 0x0
	.amdhsa_kernel _ZN2at6native12_GLOBAL__N_129ctc_loss_log_alpha_gpu_kernelIdiEEvPT_PKS3_PKllPKT0_S8_lS4_llllllS8_lll
		.amdhsa_group_segment_fixed_size 0
		.amdhsa_private_segment_fixed_size 0
		.amdhsa_kernarg_size 400
		.amdhsa_user_sgpr_count 2
		.amdhsa_user_sgpr_dispatch_ptr 0
		.amdhsa_user_sgpr_queue_ptr 0
		.amdhsa_user_sgpr_kernarg_segment_ptr 1
		.amdhsa_user_sgpr_dispatch_id 0
		.amdhsa_user_sgpr_kernarg_preload_length 0
		.amdhsa_user_sgpr_kernarg_preload_offset 0
		.amdhsa_user_sgpr_private_segment_size 0
		.amdhsa_wavefront_size32 1
		.amdhsa_uses_dynamic_stack 0
		.amdhsa_enable_private_segment 0
		.amdhsa_system_sgpr_workgroup_id_x 1
		.amdhsa_system_sgpr_workgroup_id_y 1
		.amdhsa_system_sgpr_workgroup_id_z 0
		.amdhsa_system_sgpr_workgroup_info 0
		.amdhsa_system_vgpr_workitem_id 1
		.amdhsa_next_free_vgpr 68
		.amdhsa_next_free_sgpr 49
		.amdhsa_named_barrier_count 0
		.amdhsa_reserve_vcc 1
		.amdhsa_float_round_mode_32 0
		.amdhsa_float_round_mode_16_64 0
		.amdhsa_float_denorm_mode_32 3
		.amdhsa_float_denorm_mode_16_64 3
		.amdhsa_fp16_overflow 0
		.amdhsa_memory_ordered 1
		.amdhsa_forward_progress 1
		.amdhsa_inst_pref_size 39
		.amdhsa_round_robin_scheduling 0
		.amdhsa_exception_fp_ieee_invalid_op 0
		.amdhsa_exception_fp_denorm_src 0
		.amdhsa_exception_fp_ieee_div_zero 0
		.amdhsa_exception_fp_ieee_overflow 0
		.amdhsa_exception_fp_ieee_underflow 0
		.amdhsa_exception_fp_ieee_inexact 0
		.amdhsa_exception_int_div_zero 0
	.end_amdhsa_kernel
	.section	.text._ZN2at6native12_GLOBAL__N_129ctc_loss_log_alpha_gpu_kernelIdiEEvPT_PKS3_PKllPKT0_S8_lS4_llllllS8_lll,"axG",@progbits,_ZN2at6native12_GLOBAL__N_129ctc_loss_log_alpha_gpu_kernelIdiEEvPT_PKS3_PKllPKT0_S8_lS4_llllllS8_lll,comdat
.Lfunc_end1:
	.size	_ZN2at6native12_GLOBAL__N_129ctc_loss_log_alpha_gpu_kernelIdiEEvPT_PKS3_PKllPKT0_S8_lS4_llllllS8_lll, .Lfunc_end1-_ZN2at6native12_GLOBAL__N_129ctc_loss_log_alpha_gpu_kernelIdiEEvPT_PKS3_PKllPKT0_S8_lS4_llllllS8_lll
                                        ; -- End function
	.set _ZN2at6native12_GLOBAL__N_129ctc_loss_log_alpha_gpu_kernelIdiEEvPT_PKS3_PKllPKT0_S8_lS4_llllllS8_lll.num_vgpr, 68
	.set _ZN2at6native12_GLOBAL__N_129ctc_loss_log_alpha_gpu_kernelIdiEEvPT_PKS3_PKllPKT0_S8_lS4_llllllS8_lll.num_agpr, 0
	.set _ZN2at6native12_GLOBAL__N_129ctc_loss_log_alpha_gpu_kernelIdiEEvPT_PKS3_PKllPKT0_S8_lS4_llllllS8_lll.numbered_sgpr, 49
	.set _ZN2at6native12_GLOBAL__N_129ctc_loss_log_alpha_gpu_kernelIdiEEvPT_PKS3_PKllPKT0_S8_lS4_llllllS8_lll.num_named_barrier, 0
	.set _ZN2at6native12_GLOBAL__N_129ctc_loss_log_alpha_gpu_kernelIdiEEvPT_PKS3_PKllPKT0_S8_lS4_llllllS8_lll.private_seg_size, 0
	.set _ZN2at6native12_GLOBAL__N_129ctc_loss_log_alpha_gpu_kernelIdiEEvPT_PKS3_PKllPKT0_S8_lS4_llllllS8_lll.uses_vcc, 1
	.set _ZN2at6native12_GLOBAL__N_129ctc_loss_log_alpha_gpu_kernelIdiEEvPT_PKS3_PKllPKT0_S8_lS4_llllllS8_lll.uses_flat_scratch, 0
	.set _ZN2at6native12_GLOBAL__N_129ctc_loss_log_alpha_gpu_kernelIdiEEvPT_PKS3_PKllPKT0_S8_lS4_llllllS8_lll.has_dyn_sized_stack, 0
	.set _ZN2at6native12_GLOBAL__N_129ctc_loss_log_alpha_gpu_kernelIdiEEvPT_PKS3_PKllPKT0_S8_lS4_llllllS8_lll.has_recursion, 0
	.set _ZN2at6native12_GLOBAL__N_129ctc_loss_log_alpha_gpu_kernelIdiEEvPT_PKS3_PKllPKT0_S8_lS4_llllllS8_lll.has_indirect_call, 0
	.section	.AMDGPU.csdata,"",@progbits
; Kernel info:
; codeLenInByte = 4900
; TotalNumSgprs: 51
; NumVgprs: 68
; ScratchSize: 0
; MemoryBound: 0
; FloatMode: 240
; IeeeMode: 1
; LDSByteSize: 0 bytes/workgroup (compile time only)
; SGPRBlocks: 0
; VGPRBlocks: 4
; NumSGPRsForWavesPerEU: 51
; NumVGPRsForWavesPerEU: 68
; NamedBarCnt: 0
; Occupancy: 12
; WaveLimiterHint : 1
; COMPUTE_PGM_RSRC2:SCRATCH_EN: 0
; COMPUTE_PGM_RSRC2:USER_SGPR: 2
; COMPUTE_PGM_RSRC2:TRAP_HANDLER: 0
; COMPUTE_PGM_RSRC2:TGID_X_EN: 1
; COMPUTE_PGM_RSRC2:TGID_Y_EN: 1
; COMPUTE_PGM_RSRC2:TGID_Z_EN: 0
; COMPUTE_PGM_RSRC2:TIDIG_COMP_CNT: 1
	.section	.text._ZN2at6native12_GLOBAL__N_129ctc_loss_log_alpha_gpu_kernelIflEEvPT_PKS3_PKllPKT0_S8_lS4_llllllS8_lll,"axG",@progbits,_ZN2at6native12_GLOBAL__N_129ctc_loss_log_alpha_gpu_kernelIflEEvPT_PKS3_PKllPKT0_S8_lS4_llllllS8_lll,comdat
	.globl	_ZN2at6native12_GLOBAL__N_129ctc_loss_log_alpha_gpu_kernelIflEEvPT_PKS3_PKllPKT0_S8_lS4_llllllS8_lll ; -- Begin function _ZN2at6native12_GLOBAL__N_129ctc_loss_log_alpha_gpu_kernelIflEEvPT_PKS3_PKllPKT0_S8_lS4_llllllS8_lll
	.p2align	8
	.type	_ZN2at6native12_GLOBAL__N_129ctc_loss_log_alpha_gpu_kernelIflEEvPT_PKS3_PKllPKT0_S8_lS4_llllllS8_lll,@function
_ZN2at6native12_GLOBAL__N_129ctc_loss_log_alpha_gpu_kernelIflEEvPT_PKS3_PKllPKT0_S8_lS4_llllllS8_lll: ; @_ZN2at6native12_GLOBAL__N_129ctc_loss_log_alpha_gpu_kernelIflEEvPT_PKS3_PKllPKT0_S8_lS4_llllllS8_lll
; %bb.0:
	s_clause 0x1
	s_load_u16 s2, s[0:1], 0x9e
	s_load_b128 s[12:15], s[0:1], 0x78
	s_bfe_u32 s3, ttmp6, 0x40010
	s_bfe_u32 s4, ttmp6, 0x40004
	s_add_co_i32 s3, s3, 1
	v_bfe_u32 v1, v0, 10, 10
	s_mul_i32 s3, ttmp7, s3
	v_mov_b32_e32 v3, 0
	s_add_co_i32 s4, s4, s3
	s_getreg_b32 s3, hwreg(HW_REG_IB_STS2, 6, 4)
	s_delay_alu instid0(SALU_CYCLE_1) | instskip(SKIP_4) | instid1(VALU_DEP_1)
	s_cmp_eq_u32 s3, 0
	s_cselect_b32 s3, ttmp7, s4
	s_wait_kmcnt 0x0
	v_mad_u32 v2, s3, s2, v1
	s_mov_b32 s2, exec_lo
	v_cmpx_gt_i64_e64 s[14:15], v[2:3]
	s_cbranch_execz .LBB2_53
; %bb.1:
	s_clause 0x1
	s_load_b64 s[2:3], s[0:1], 0x10
	s_load_b64 s[4:5], s[0:1], 0x28
	v_lshlrev_b64_e32 v[4:5], 3, v[2:3]
	s_load_b64 s[14:15], s[0:1], 0x38
	s_wait_kmcnt 0x0
	s_delay_alu instid0(VALU_DEP_1)
	v_add_nc_u64_e32 v[6:7], s[2:3], v[4:5]
	v_add_nc_u64_e32 v[4:5], s[4:5], v[4:5]
	s_mov_b32 s2, exec_lo
	global_load_b64 v[6:7], v[6:7], off
	global_load_b64 v[4:5], v[4:5], off
	s_wait_loadcnt 0x1
	s_wait_xcnt 0x0
	v_cmpx_ne_u64_e32 0, v[6:7]
	s_xor_b32 s33, exec_lo, s2
	s_cbranch_execz .LBB2_50
; %bb.2:
	s_clause 0x2
	s_load_b64 s[2:3], s[0:1], 0x70
	s_load_b128 s[16:19], s[0:1], 0x60
	s_load_b256 s[4:11], s[0:1], 0x40
	v_and_b32_e32 v0, 0x3ff, v0
	s_add_nc_u64 s[26:27], s[0:1], 0x90
	s_wait_kmcnt 0x0
	v_lshl_add_u64 v[8:9], v[2:3], 3, s[2:3]
	v_mul_u64_e32 v[26:27], s[6:7], v[2:3]
	global_load_b64 v[12:13], v[8:9], off
	s_wait_xcnt 0x0
	v_mul_u64_e32 v[8:9], s[10:11], v[2:3]
	s_clause 0x3
	s_load_b64 s[10:11], s[0:1], 0x30
	s_load_b64 s[24:25], s[0:1], 0x20
	s_load_b128 s[20:23], s[0:1], 0x0
	s_load_b64 s[6:7], s[0:1], 0x88
	s_wait_kmcnt 0x0
	v_cmp_gt_i64_e64 s3, s[10:11], -1
	s_lshl_b64 s[10:11], s[10:11], 1
	s_and_b32 vcc_lo, exec_lo, s3
	v_lshlrev_b64_e32 v[10:11], 2, v[8:9]
	s_wait_loadcnt 0x0
	v_lshl_add_u64 v[12:13], v[12:13], 3, s[24:25]
	s_cbranch_vccz .LBB2_17
; %bb.3:
	v_mov_b32_e32 v1, 0
	s_load_b32 s24, s[26:27], 0xc
	v_cmp_ne_u64_e64 s2, 0, v[4:5]
	s_mul_u64 s[28:29], s[6:7], s[8:9]
	s_mov_b32 s25, 0
	v_mul_u64_e32 v[14:15], s[18:19], v[0:1]
	s_wait_kmcnt 0x0
	s_and_b32 s24, s24, 0xffff
	s_delay_alu instid0(SALU_CYCLE_1) | instskip(NEXT) | instid1(SALU_CYCLE_1)
	s_mul_u64 s[30:31], s[18:19], s[24:25]
	s_lshl_b64 s[30:31], s[30:31], 2
	s_delay_alu instid0(VALU_DEP_1) | instskip(SKIP_1) | instid1(VALU_DEP_2)
	v_lshl_add_u64 v[16:17], v[14:15], 2, v[10:11]
	v_lshl_add_u64 v[14:15], v[26:27], 2, s[22:23]
	v_add_nc_u64_e32 v[16:17], s[20:21], v[16:17]
	s_delay_alu instid0(VALU_DEP_2)
	v_lshl_add_u64 v[18:19], s[28:29], 2, v[14:15]
	s_mov_b64 s[28:29], 0
	s_branch .LBB2_5
.LBB2_4:                                ;   in Loop: Header=BB2_5 Depth=1
	s_wait_xcnt 0x0
	s_or_b32 exec_lo, exec_lo, s34
	s_add_nc_u64 s[28:29], s[28:29], s[24:25]
	v_add_nc_u64_e32 v[16:17], s[30:31], v[16:17]
	v_cmp_gt_i64_e64 s34, s[28:29], s[10:11]
	s_and_b32 vcc_lo, exec_lo, s34
	s_cbranch_vccnz .LBB2_17
.LBB2_5:                                ; =>This Inner Loop Header: Depth=1
	v_add_nc_u64_e32 v[20:21], s[28:29], v[0:1]
	s_mov_b32 s34, exec_lo
                                        ; implicit-def: $vgpr22
	s_delay_alu instid0(VALU_DEP_1)
	v_cmpx_lt_i64_e32 0, v[20:21]
	s_xor_b32 s34, exec_lo, s34
	s_cbranch_execnz .LBB2_8
; %bb.6:                                ;   in Loop: Header=BB2_5 Depth=1
	s_and_not1_saveexec_b32 s34, s34
	s_cbranch_execnz .LBB2_13
.LBB2_7:                                ;   in Loop: Header=BB2_5 Depth=1
	s_or_b32 exec_lo, exec_lo, s34
	s_delay_alu instid0(SALU_CYCLE_1)
	s_mov_b32 s34, exec_lo
	v_cmpx_ge_i64_e64 s[10:11], v[20:21]
	s_cbranch_execz .LBB2_4
	s_branch .LBB2_16
.LBB2_8:                                ;   in Loop: Header=BB2_5 Depth=1
	s_wait_loadcnt 0x0
	v_mov_b32_e32 v22, 0xff800000
	s_mov_b32 s35, exec_lo
	v_cmpx_eq_u64_e32 1, v[20:21]
	s_cbranch_execz .LBB2_12
; %bb.9:                                ;   in Loop: Header=BB2_5 Depth=1
	v_mov_b32_e32 v22, 0xff800000
	s_and_saveexec_b32 s36, s2
	s_cbranch_execz .LBB2_11
; %bb.10:                               ;   in Loop: Header=BB2_5 Depth=1
	global_load_b64 v[22:23], v[12:13], off
	s_wait_loadcnt 0x0
	v_mul_u64_e32 v[22:23], s[8:9], v[22:23]
	s_delay_alu instid0(VALU_DEP_1)
	v_lshl_add_u64 v[22:23], v[22:23], 2, v[14:15]
	global_load_b32 v22, v[22:23], off
.LBB2_11:                               ;   in Loop: Header=BB2_5 Depth=1
	s_wait_xcnt 0x0
	s_or_b32 exec_lo, exec_lo, s36
.LBB2_12:                               ;   in Loop: Header=BB2_5 Depth=1
	s_delay_alu instid0(SALU_CYCLE_1)
	s_or_b32 exec_lo, exec_lo, s35
	s_and_not1_saveexec_b32 s34, s34
	s_cbranch_execz .LBB2_7
.LBB2_13:                               ;   in Loop: Header=BB2_5 Depth=1
	s_wait_loadcnt 0x0
	v_mov_b32_e32 v22, 0xff800000
	s_mov_b32 s35, exec_lo
	v_cmpx_eq_u64_e32 0, v[20:21]
	s_cbranch_execz .LBB2_15
; %bb.14:                               ;   in Loop: Header=BB2_5 Depth=1
	global_load_b32 v22, v[18:19], off
.LBB2_15:                               ;   in Loop: Header=BB2_5 Depth=1
	s_wait_xcnt 0x0
	s_or_b32 exec_lo, exec_lo, s35
	s_delay_alu instid0(SALU_CYCLE_1) | instskip(NEXT) | instid1(SALU_CYCLE_1)
	s_or_b32 exec_lo, exec_lo, s34
	s_mov_b32 s34, exec_lo
	v_cmpx_ge_i64_e64 s[10:11], v[20:21]
	s_cbranch_execz .LBB2_4
.LBB2_16:                               ;   in Loop: Header=BB2_5 Depth=1
	s_wait_loadcnt 0x0
	global_store_b32 v[16:17], v22, off
	s_branch .LBB2_4
.LBB2_17:
	v_cmp_lt_i64_e64 s2, 0, v[4:5]
	s_and_not1_b32 vcc_lo, exec_lo, s3
	s_cbranch_vccnz .LBB2_45
; %bb.18:
	v_mov_b32_e32 v15, 0
	s_load_b32 s3, s[26:27], 0xc
	s_load_b64 s[24:25], s[0:1], 0x18
	s_lshl_b64 s[28:29], s[16:17], 2
	s_lshl_b64 s[4:5], s[4:5], 2
	s_wait_xcnt 0x0
	s_add_nc_u64 s[0:1], s[20:21], s[28:29]
	v_mov_b32_e32 v1, v15
	s_add_nc_u64 s[22:23], s[22:23], s[4:5]
	s_mov_b32 s27, 0
	v_lshl_add_u64 v[26:27], v[26:27], 2, s[22:23]
	s_mov_b64 s[22:23], 0
	v_mul_u64_e32 v[18:19], s[18:19], v[0:1]
	v_add_nc_u64_e32 v[16:17], -2, v[0:1]
	v_add_nc_u64_e32 v[20:21], -1, v[0:1]
	s_lshl_b64 s[8:9], s[8:9], 2
	s_wait_loadcnt 0x0
	s_delay_alu instid0(VALU_DEP_2) | instskip(NEXT) | instid1(VALU_DEP_2)
	v_mul_u64_e32 v[22:23], s[18:19], v[16:17]
	v_mul_u64_e32 v[24:25], s[18:19], v[20:21]
	v_lshlrev_b64_e32 v[16:17], 1, v[4:5]
	s_wait_kmcnt 0x0
	v_cmp_gt_i64_e64 s36, s[24:25], 1
	s_and_b32 s26, s3, 0xffff
	s_delay_alu instid0(SALU_CYCLE_1) | instskip(NEXT) | instid1(SALU_CYCLE_1)
	s_mul_u64 s[30:31], s[18:19], s[26:27]
	s_lshl_b64 s[30:31], s[30:31], 2
	v_lshlrev_b64_e32 v[20:21], 2, v[18:19]
	s_delay_alu instid0(VALU_DEP_1)
	v_add_nc_u64_e32 v[18:19], s[0:1], v[20:21]
	v_add_nc_u64_e32 v[20:21], s[20:21], v[20:21]
	v_lshl_add_u64 v[22:23], v[22:23], 2, s[20:21]
	v_lshl_add_u64 v[24:25], v[24:25], 2, s[20:21]
	s_branch .LBB2_20
.LBB2_19:                               ;   in Loop: Header=BB2_20 Depth=1
	s_add_nc_u64 s[22:23], s[22:23], s[26:27]
	v_add_nc_u64_e32 v[18:19], s[30:31], v[18:19]
	v_cmp_gt_i64_e64 s0, s[22:23], s[10:11]
	v_add_nc_u64_e32 v[20:21], s[30:31], v[20:21]
	v_add_nc_u64_e32 v[22:23], s[30:31], v[22:23]
	v_add_nc_u64_e32 v[24:25], s[30:31], v[24:25]
	s_and_b32 vcc_lo, exec_lo, s0
	s_cbranch_vccnz .LBB2_45
.LBB2_20:                               ; =>This Loop Header: Depth=1
                                        ;     Child Loop BB2_31 Depth 2
	v_add_nc_u64_e32 v[30:31], s[22:23], v[0:1]
	s_wait_loadcnt 0x0
	v_mov_b64_e32 v[32:33], s[6:7]
	s_mov_b32 s37, 0
	s_delay_alu instid0(VALU_DEP_2) | instskip(SKIP_1) | instid1(SALU_CYCLE_1)
	v_cmp_le_i64_e64 s1, v[30:31], v[16:17]
	s_and_b32 s0, s2, s1
	s_and_saveexec_b32 s3, s0
	s_cbranch_execz .LBB2_28
; %bb.21:                               ;   in Loop: Header=BB2_20 Depth=1
	v_and_b32_e32 v14, 1, v30
	v_mov_b64_e32 v[32:33], s[6:7]
	s_delay_alu instid0(VALU_DEP_2)
	v_cmp_eq_u32_e32 vcc_lo, 1, v14
	s_and_saveexec_b32 s0, vcc_lo
	s_cbranch_execz .LBB2_23
; %bb.22:                               ;   in Loop: Header=BB2_20 Depth=1
	v_lshrrev_b64 v[28:29], 1, v[30:31]
	s_delay_alu instid0(VALU_DEP_1) | instskip(NEXT) | instid1(VALU_DEP_1)
	v_mul_u64_e32 v[28:29], s[12:13], v[28:29]
	v_lshl_add_u64 v[28:29], v[28:29], 3, v[12:13]
	global_load_b64 v[32:33], v[28:29], off
.LBB2_23:                               ;   in Loop: Header=BB2_20 Depth=1
	s_wait_xcnt 0x0
	s_or_b32 exec_lo, exec_lo, s0
	s_mov_b32 s35, 0
	s_mov_b32 s34, exec_lo
	v_cmpx_lt_u64_e32 1, v[30:31]
	s_cbranch_execz .LBB2_27
; %bb.24:                               ;   in Loop: Header=BB2_20 Depth=1
	v_mov_b64_e32 v[28:29], s[6:7]
	s_and_saveexec_b32 s0, vcc_lo
	s_cbranch_execz .LBB2_26
; %bb.25:                               ;   in Loop: Header=BB2_20 Depth=1
	v_add_nc_u64_e32 v[28:29], -2, v[30:31]
	s_delay_alu instid0(VALU_DEP_1) | instskip(NEXT) | instid1(VALU_DEP_1)
	v_lshrrev_b32_e32 v14, 31, v29
	v_add_nc_u64_e32 v[28:29], v[28:29], v[14:15]
	s_delay_alu instid0(VALU_DEP_1) | instskip(NEXT) | instid1(VALU_DEP_1)
	v_lshrrev_b64 v[28:29], 1, v[28:29]
	v_mul_u64_e32 v[28:29], s[12:13], v[28:29]
	s_delay_alu instid0(VALU_DEP_1)
	v_lshl_add_u64 v[28:29], v[28:29], 3, v[12:13]
	global_load_b64 v[28:29], v[28:29], off
.LBB2_26:                               ;   in Loop: Header=BB2_20 Depth=1
	s_wait_xcnt 0x0
	s_or_b32 exec_lo, exec_lo, s0
	s_wait_loadcnt 0x0
	s_delay_alu instid0(VALU_DEP_1)
	v_cmp_ne_u64_e32 vcc_lo, v[28:29], v[32:33]
	s_and_b32 s35, vcc_lo, exec_lo
.LBB2_27:                               ;   in Loop: Header=BB2_20 Depth=1
	s_or_b32 exec_lo, exec_lo, s34
	s_delay_alu instid0(SALU_CYCLE_1)
	s_and_b32 s37, s35, exec_lo
.LBB2_28:                               ;   in Loop: Header=BB2_20 Depth=1
	s_or_b32 exec_lo, exec_lo, s3
	s_delay_alu instid0(SALU_CYCLE_1)
	s_and_not1_b32 vcc_lo, exec_lo, s36
	s_cbranch_vccnz .LBB2_19
; %bb.29:                               ;   in Loop: Header=BB2_20 Depth=1
	s_wait_loadcnt 0x0
	v_mad_nc_u64_u32 v[28:29], s8, v32, v[26:27]
	v_cmp_ge_i64_e32 vcc_lo, s[10:11], v[30:31]
	v_cmp_ne_u64_e64 s0, 0, v[30:31]
	v_mov_b64_e32 v[30:31], v[24:25]
	v_mov_b64_e32 v[34:35], v[20:21]
	;; [unrolled: 1-line block ×3, first 2 shown]
	s_mov_b64 s[34:35], 1
	s_xor_b32 s38, s1, -1
	v_mad_u32 v14, s9, v32, v29
	s_delay_alu instid0(VALU_DEP_1)
	v_mad_u32 v29, s8, v33, v14
	v_mov_b64_e32 v[32:33], v[22:23]
	s_branch .LBB2_31
.LBB2_30:                               ;   in Loop: Header=BB2_31 Depth=2
	s_wait_xcnt 0x0
	s_or_b32 exec_lo, exec_lo, s1
	v_add_nc_u64_e32 v[36:37], s[28:29], v[36:37]
	v_add_nc_u64_e32 v[34:35], s[28:29], v[34:35]
	;; [unrolled: 1-line block ×5, first 2 shown]
	s_add_nc_u64 s[34:35], s[34:35], 1
	s_delay_alu instid0(SALU_CYCLE_1)
	s_cmp_eq_u64 s[24:25], s[34:35]
	s_cbranch_scc1 .LBB2_19
.LBB2_31:                               ;   Parent Loop BB2_20 Depth=1
                                        ; =>  This Inner Loop Header: Depth=2
	v_cmp_ge_i64_e64 s1, s[34:35], v[6:7]
	s_mov_b32 s39, 0
	s_wait_storecnt 0x0
	s_barrier_signal -1
	s_barrier_wait -1
	s_or_b32 s1, s38, s1
	s_delay_alu instid0(SALU_CYCLE_1) | instskip(NEXT) | instid1(SALU_CYCLE_1)
	s_and_saveexec_b32 s3, s1
	s_xor_b32 s1, exec_lo, s3
	s_cbranch_execnz .LBB2_34
; %bb.32:                               ;   in Loop: Header=BB2_31 Depth=2
	s_or_saveexec_b32 s40, s1
	v_mov_b32_e32 v14, 0xff800000
	s_xor_b32 exec_lo, exec_lo, s40
	s_cbranch_execnz .LBB2_35
.LBB2_33:                               ;   in Loop: Header=BB2_31 Depth=2
	s_or_b32 exec_lo, exec_lo, s40
	s_and_saveexec_b32 s1, s39
	s_cbranch_execz .LBB2_30
	s_branch .LBB2_44
.LBB2_34:                               ;   in Loop: Header=BB2_31 Depth=2
	s_and_b32 s39, vcc_lo, exec_lo
	s_or_saveexec_b32 s40, s1
	v_mov_b32_e32 v14, 0xff800000
	s_xor_b32 exec_lo, exec_lo, s40
	s_cbranch_execz .LBB2_33
.LBB2_35:                               ;   in Loop: Header=BB2_31 Depth=2
	v_add_nc_u64_e32 v[38:39], v[34:35], v[10:11]
	v_mov_b32_e32 v14, 0xff800000
	global_load_b32 v38, v[38:39], off
	s_wait_loadcnt 0x0
	v_dual_mov_b32 v39, 0xff800000 :: v_dual_mov_b32 v40, v38
	s_and_saveexec_b32 s3, s0
	s_cbranch_execz .LBB2_39
; %bb.36:                               ;   in Loop: Header=BB2_31 Depth=2
	v_add_nc_u64_e32 v[40:41], v[30:31], v[10:11]
	s_mov_b32 s41, exec_lo
	global_load_b32 v39, v[40:41], off
	s_wait_xcnt 0x0
	v_mov_b32_e32 v40, v38
	s_wait_loadcnt 0x0
	v_cmpx_gt_f32_e32 v39, v38
; %bb.37:                               ;   in Loop: Header=BB2_31 Depth=2
	v_mov_b32_e32 v40, v39
; %bb.38:                               ;   in Loop: Header=BB2_31 Depth=2
	s_or_b32 exec_lo, exec_lo, s41
.LBB2_39:                               ;   in Loop: Header=BB2_31 Depth=2
	s_delay_alu instid0(SALU_CYCLE_1)
	s_or_b32 exec_lo, exec_lo, s3
	s_and_saveexec_b32 s3, s37
	s_cbranch_execz .LBB2_43
; %bb.40:                               ;   in Loop: Header=BB2_31 Depth=2
	v_add_nc_u64_e32 v[42:43], v[32:33], v[10:11]
	s_mov_b32 s41, exec_lo
	global_load_b32 v14, v[42:43], off
	s_wait_loadcnt 0x0
	v_cmpx_gt_f32_e32 v14, v40
; %bb.41:                               ;   in Loop: Header=BB2_31 Depth=2
	v_mov_b32_e32 v40, v14
; %bb.42:                               ;   in Loop: Header=BB2_31 Depth=2
	s_or_b32 exec_lo, exec_lo, s41
.LBB2_43:                               ;   in Loop: Header=BB2_31 Depth=2
	s_delay_alu instid0(SALU_CYCLE_1) | instskip(SKIP_4) | instid1(VALU_DEP_1)
	s_or_b32 exec_lo, exec_lo, s3
	global_load_b32 v41, v[28:29], off
	v_cmp_neq_f32_e64 s1, 0xff800000, v40
	s_or_b32 s39, s39, exec_lo
	v_cndmask_b32_e64 v40, 0, v40, s1
	v_sub_f32_e32 v38, v38, v40
	s_delay_alu instid0(VALU_DEP_1) | instskip(NEXT) | instid1(VALU_DEP_1)
	v_mul_f32_e32 v42, 0x3fb8aa3b, v38
	v_rndne_f32_e32 v45, v42
	v_fma_f32 v44, 0x3fb8aa3b, v38, -v42
	s_delay_alu instid0(VALU_DEP_2) | instskip(NEXT) | instid1(VALU_DEP_2)
	v_dual_sub_f32 v42, v42, v45 :: v_dual_sub_f32 v39, v39, v40
	v_fmac_f32_e32 v44, 0x32a5705f, v38
	v_cvt_i32_f32_e32 v45, v45
	v_cmp_ngt_f32_e64 s1, 0xc2ce8ed0, v38
	s_delay_alu instid0(VALU_DEP_4) | instskip(NEXT) | instid1(VALU_DEP_1)
	v_mul_f32_e32 v43, 0x3fb8aa3b, v39
	v_rndne_f32_e32 v47, v43
	v_sub_f32_e32 v14, v14, v40
	v_fma_f32 v46, 0x3fb8aa3b, v39, -v43
	s_delay_alu instid0(VALU_DEP_2) | instskip(NEXT) | instid1(VALU_DEP_1)
	v_dual_sub_f32 v43, v43, v47 :: v_dual_mul_f32 v48, 0x3fb8aa3b, v14
	v_fma_f32 v49, 0x3fb8aa3b, v14, -v48
	s_delay_alu instid0(VALU_DEP_3) | instskip(SKIP_1) | instid1(VALU_DEP_3)
	v_fmac_f32_e32 v46, 0x32a5705f, v39
	v_rndne_f32_e32 v50, v48
	v_dual_fmac_f32 v49, 0x32a5705f, v14 :: v_dual_add_f32 v42, v42, v44
	s_delay_alu instid0(VALU_DEP_3) | instskip(SKIP_1) | instid1(VALU_DEP_3)
	v_add_f32_e32 v43, v43, v46
	v_cvt_i32_f32_e32 v46, v47
	v_exp_f32_e32 v42, v42
	s_delay_alu instid0(VALU_DEP_2) | instskip(NEXT) | instid1(TRANS32_DEP_2)
	v_exp_f32_e32 v43, v43
	v_ldexp_f32 v42, v42, v45
	s_delay_alu instid0(TRANS32_DEP_1) | instskip(SKIP_1) | instid1(VALU_DEP_3)
	v_ldexp_f32 v43, v43, v46
	v_cvt_i32_f32_e32 v45, v50
	v_cndmask_b32_e64 v42, 0, v42, s1
	v_cmp_ngt_f32_e64 s1, 0xc2ce8ed0, v39
	s_delay_alu instid0(VALU_DEP_1) | instskip(SKIP_1) | instid1(VALU_DEP_1)
	v_dual_sub_f32 v44, v48, v50 :: v_dual_cndmask_b32 v43, 0, v43, s1
	v_cmp_nlt_f32_e64 s1, 0x42b17218, v38
	v_cndmask_b32_e64 v38, 0x7f800000, v42, s1
	v_cmp_nlt_f32_e64 s1, 0x42b17218, v39
	s_delay_alu instid0(VALU_DEP_1) | instskip(SKIP_2) | instid1(VALU_DEP_3)
	v_cndmask_b32_e64 v39, 0x7f800000, v43, s1
	v_add_f32_e32 v44, v44, v49
	v_cmp_ngt_f32_e64 s1, 0xc2ce8ed0, v14
	v_add_f32_e32 v38, v38, v39
	s_delay_alu instid0(VALU_DEP_3) | instskip(SKIP_1) | instid1(TRANS32_DEP_1)
	v_exp_f32_e32 v44, v44
	v_nop
	v_ldexp_f32 v44, v44, v45
	s_delay_alu instid0(VALU_DEP_1) | instskip(SKIP_1) | instid1(VALU_DEP_1)
	v_cndmask_b32_e64 v42, 0, v44, s1
	v_cmp_nlt_f32_e64 s1, 0x42b17218, v14
	v_cndmask_b32_e64 v14, 0x7f800000, v42, s1
	s_delay_alu instid0(VALU_DEP_1) | instskip(NEXT) | instid1(VALU_DEP_1)
	v_add_f32_e32 v14, v14, v38
	v_cmp_gt_f32_e64 s1, 0x800000, v14
	s_delay_alu instid0(VALU_DEP_1) | instskip(NEXT) | instid1(VALU_DEP_1)
	v_cndmask_b32_e64 v38, 0, 32, s1
	v_ldexp_f32 v14, v14, v38
	s_delay_alu instid0(VALU_DEP_1) | instskip(SKIP_1) | instid1(TRANS32_DEP_1)
	v_log_f32_e32 v14, v14
	v_nop
	v_mul_f32_e32 v38, 0x3f317217, v14
	v_cmp_gt_f32_e64 s3, 0x7f800000, |v14|
	s_delay_alu instid0(VALU_DEP_2) | instskip(NEXT) | instid1(VALU_DEP_1)
	v_fma_f32 v38, 0x3f317217, v14, -v38
	v_fmac_f32_e32 v38, 0x3377d1cf, v14
	s_delay_alu instid0(VALU_DEP_1) | instskip(NEXT) | instid1(VALU_DEP_1)
	v_fmac_f32_e32 v38, 0x3f317217, v14
	v_cndmask_b32_e64 v14, v14, v38, s3
	v_cndmask_b32_e64 v38, 0, 0x41b17218, s1
	s_delay_alu instid0(VALU_DEP_1) | instskip(NEXT) | instid1(VALU_DEP_1)
	v_sub_f32_e32 v14, v14, v38
	v_add_f32_e32 v14, v40, v14
	s_wait_loadcnt 0x0
	s_delay_alu instid0(VALU_DEP_1)
	v_add_f32_e32 v14, v41, v14
	s_or_b32 exec_lo, exec_lo, s40
	s_and_saveexec_b32 s1, s39
	s_cbranch_execz .LBB2_30
.LBB2_44:                               ;   in Loop: Header=BB2_31 Depth=2
	v_add_nc_u64_e32 v[38:39], v[36:37], v[10:11]
	global_store_b32 v[38:39], v14, off
	s_branch .LBB2_30
.LBB2_45:
	s_mov_b32 s0, exec_lo
	s_wait_loadcnt 0x0
	s_wait_storecnt 0x0
	s_barrier_signal -1
	s_barrier_wait -1
	v_cmpx_eq_u32_e32 0, v0
	s_cbranch_execz .LBB2_49
; %bb.46:
	v_add_nc_u64_e32 v[0:1], -1, v[6:7]
	v_mul_u64_e32 v[6:7], s[18:19], v[4:5]
	v_lshl_add_u64 v[8:9], v[8:9], 2, s[20:21]
	v_cmp_lt_i64_e32 vcc_lo, 0, v[4:5]
	v_mov_b32_e32 v4, 0xff800000
	v_mul_u64_e32 v[0:1], s[16:17], v[0:1]
	s_delay_alu instid0(VALU_DEP_1) | instskip(NEXT) | instid1(VALU_DEP_1)
	v_lshl_add_u64 v[0:1], v[0:1], 2, v[8:9]
	v_lshl_add_u64 v[8:9], v[6:7], 3, v[0:1]
	global_load_b32 v8, v[8:9], off
	s_wait_xcnt 0x0
	s_and_saveexec_b32 s1, vcc_lo
	s_cbranch_execz .LBB2_48
; %bb.47:
	v_lshlrev_b64_e32 v[4:5], 1, v[6:7]
	s_delay_alu instid0(VALU_DEP_1) | instskip(NEXT) | instid1(VALU_DEP_1)
	v_sub_nc_u64_e64 v[4:5], v[4:5], s[18:19]
	v_lshl_add_u64 v[0:1], v[4:5], 2, v[0:1]
	global_load_b32 v4, v[0:1], off
.LBB2_48:
	s_wait_xcnt 0x0
	s_or_b32 exec_lo, exec_lo, s1
	s_wait_loadcnt 0x0
	v_cmp_gt_f32_e32 vcc_lo, v8, v4
	v_cndmask_b32_e32 v0, v4, v8, vcc_lo
	s_delay_alu instid0(VALU_DEP_1) | instskip(SKIP_1) | instid1(VALU_DEP_1)
	v_cmp_neq_f32_e32 vcc_lo, 0xff800000, v0
	v_cndmask_b32_e32 v0, 0, v0, vcc_lo
	v_sub_f32_e32 v1, v8, v0
	s_delay_alu instid0(VALU_DEP_1) | instskip(NEXT) | instid1(VALU_DEP_1)
	v_mul_f32_e32 v5, 0x3fb8aa3b, v1
	v_fma_f32 v7, 0x3fb8aa3b, v1, -v5
	v_rndne_f32_e32 v8, v5
	s_delay_alu instid0(VALU_DEP_2) | instskip(NEXT) | instid1(VALU_DEP_2)
	v_fmac_f32_e32 v7, 0x32a5705f, v1
	v_sub_f32_e32 v5, v5, v8
	s_delay_alu instid0(VALU_DEP_1) | instskip(SKIP_1) | instid1(VALU_DEP_2)
	v_dual_sub_f32 v4, v4, v0 :: v_dual_add_f32 v5, v5, v7
	v_cvt_i32_f32_e32 v7, v8
	v_exp_f32_e32 v5, v5
	v_nop
	s_delay_alu instid0(TRANS32_DEP_1) | instskip(SKIP_1) | instid1(VALU_DEP_1)
	v_ldexp_f32 v5, v5, v7
	v_mul_f32_e32 v6, 0x3fb8aa3b, v4
	v_rndne_f32_e32 v10, v6
	v_fma_f32 v9, 0x3fb8aa3b, v4, -v6
	s_delay_alu instid0(VALU_DEP_2)
	v_sub_f32_e32 v6, v6, v10
	v_cmp_ngt_f32_e32 vcc_lo, 0xc2ce8ed0, v1
	v_cvt_i32_f32_e32 v8, v10
	v_cndmask_b32_e32 v5, 0, v5, vcc_lo
	v_cmp_ngt_f32_e32 vcc_lo, 0xc2ce8ed0, v4
	v_fmac_f32_e32 v9, 0x32a5705f, v4
	s_delay_alu instid0(VALU_DEP_1) | instskip(NEXT) | instid1(VALU_DEP_1)
	v_add_f32_e32 v6, v6, v9
	v_exp_f32_e32 v6, v6
	v_nop
	s_delay_alu instid0(TRANS32_DEP_1) | instskip(NEXT) | instid1(VALU_DEP_1)
	v_ldexp_f32 v6, v6, v8
	v_cndmask_b32_e32 v6, 0, v6, vcc_lo
	v_cmp_nlt_f32_e32 vcc_lo, 0x42b17218, v1
	v_cndmask_b32_e32 v1, 0x7f800000, v5, vcc_lo
	v_cmp_nlt_f32_e32 vcc_lo, 0x42b17218, v4
	s_delay_alu instid0(VALU_DEP_4) | instskip(NEXT) | instid1(VALU_DEP_1)
	v_cndmask_b32_e32 v4, 0x7f800000, v6, vcc_lo
	v_add_f32_e32 v1, v1, v4
	s_delay_alu instid0(VALU_DEP_1) | instskip(SKIP_2) | instid1(VALU_DEP_2)
	v_cmp_gt_f32_e32 vcc_lo, 0x800000, v1
	v_cndmask_b32_e64 v4, 0, 32, vcc_lo
	v_cndmask_b32_e64 v5, 0, 0x41b17218, vcc_lo
	v_ldexp_f32 v1, v1, v4
	s_delay_alu instid0(VALU_DEP_1) | instskip(SKIP_1) | instid1(TRANS32_DEP_1)
	v_log_f32_e32 v1, v1
	v_nop
	v_mul_f32_e32 v4, 0x3f317217, v1
	v_cmp_gt_f32_e64 vcc_lo, 0x7f800000, |v1|
	s_delay_alu instid0(VALU_DEP_2) | instskip(NEXT) | instid1(VALU_DEP_1)
	v_fma_f32 v4, 0x3f317217, v1, -v4
	v_fmamk_f32 v4, v1, 0x3377d1cf, v4
	s_delay_alu instid0(VALU_DEP_1) | instskip(NEXT) | instid1(VALU_DEP_1)
	v_fmac_f32_e32 v4, 0x3f317217, v1
	v_cndmask_b32_e32 v1, v1, v4, vcc_lo
	s_delay_alu instid0(VALU_DEP_1) | instskip(NEXT) | instid1(VALU_DEP_1)
	v_sub_f32_e32 v1, v1, v5
	v_add_f32_e32 v0, v0, v1
	s_delay_alu instid0(VALU_DEP_1)
	v_xor_b32_e32 v4, 0x80000000, v0
	v_lshl_add_u64 v[0:1], v[2:3], 2, s[14:15]
	global_store_b32 v[0:1], v4, off
.LBB2_49:
	s_wait_xcnt 0x0
	s_or_b32 exec_lo, exec_lo, s0
                                        ; implicit-def: $vgpr0
                                        ; implicit-def: $vgpr2_vgpr3
                                        ; implicit-def: $vgpr4_vgpr5
.LBB2_50:
	s_and_not1_saveexec_b32 s0, s33
	s_cbranch_execz .LBB2_53
; %bb.51:
	v_and_b32_e32 v0, 0x3ff, v0
	s_delay_alu instid0(VALU_DEP_1)
	v_cmp_eq_u32_e32 vcc_lo, 0, v0
	s_and_b32 exec_lo, exec_lo, vcc_lo
	s_cbranch_execz .LBB2_53
; %bb.52:
	s_wait_loadcnt 0x0
	v_cmp_eq_u64_e32 vcc_lo, 0, v[4:5]
	v_bfrev_b32_e32 v6, 1
	v_lshl_add_u64 v[0:1], v[2:3], 2, s[14:15]
	s_delay_alu instid0(VALU_DEP_2)
	v_cndmask_b32_e32 v2, 0x7f800000, v6, vcc_lo
	global_store_b32 v[0:1], v2, off
.LBB2_53:
	s_endpgm
	.section	.rodata,"a",@progbits
	.p2align	6, 0x0
	.amdhsa_kernel _ZN2at6native12_GLOBAL__N_129ctc_loss_log_alpha_gpu_kernelIflEEvPT_PKS3_PKllPKT0_S8_lS4_llllllS8_lll
		.amdhsa_group_segment_fixed_size 0
		.amdhsa_private_segment_fixed_size 0
		.amdhsa_kernarg_size 400
		.amdhsa_user_sgpr_count 2
		.amdhsa_user_sgpr_dispatch_ptr 0
		.amdhsa_user_sgpr_queue_ptr 0
		.amdhsa_user_sgpr_kernarg_segment_ptr 1
		.amdhsa_user_sgpr_dispatch_id 0
		.amdhsa_user_sgpr_kernarg_preload_length 0
		.amdhsa_user_sgpr_kernarg_preload_offset 0
		.amdhsa_user_sgpr_private_segment_size 0
		.amdhsa_wavefront_size32 1
		.amdhsa_uses_dynamic_stack 0
		.amdhsa_enable_private_segment 0
		.amdhsa_system_sgpr_workgroup_id_x 1
		.amdhsa_system_sgpr_workgroup_id_y 1
		.amdhsa_system_sgpr_workgroup_id_z 0
		.amdhsa_system_sgpr_workgroup_info 0
		.amdhsa_system_vgpr_workitem_id 1
		.amdhsa_next_free_vgpr 51
		.amdhsa_next_free_sgpr 42
		.amdhsa_named_barrier_count 0
		.amdhsa_reserve_vcc 1
		.amdhsa_float_round_mode_32 0
		.amdhsa_float_round_mode_16_64 0
		.amdhsa_float_denorm_mode_32 3
		.amdhsa_float_denorm_mode_16_64 3
		.amdhsa_fp16_overflow 0
		.amdhsa_memory_ordered 1
		.amdhsa_forward_progress 1
		.amdhsa_inst_pref_size 22
		.amdhsa_round_robin_scheduling 0
		.amdhsa_exception_fp_ieee_invalid_op 0
		.amdhsa_exception_fp_denorm_src 0
		.amdhsa_exception_fp_ieee_div_zero 0
		.amdhsa_exception_fp_ieee_overflow 0
		.amdhsa_exception_fp_ieee_underflow 0
		.amdhsa_exception_fp_ieee_inexact 0
		.amdhsa_exception_int_div_zero 0
	.end_amdhsa_kernel
	.section	.text._ZN2at6native12_GLOBAL__N_129ctc_loss_log_alpha_gpu_kernelIflEEvPT_PKS3_PKllPKT0_S8_lS4_llllllS8_lll,"axG",@progbits,_ZN2at6native12_GLOBAL__N_129ctc_loss_log_alpha_gpu_kernelIflEEvPT_PKS3_PKllPKT0_S8_lS4_llllllS8_lll,comdat
.Lfunc_end2:
	.size	_ZN2at6native12_GLOBAL__N_129ctc_loss_log_alpha_gpu_kernelIflEEvPT_PKS3_PKllPKT0_S8_lS4_llllllS8_lll, .Lfunc_end2-_ZN2at6native12_GLOBAL__N_129ctc_loss_log_alpha_gpu_kernelIflEEvPT_PKS3_PKllPKT0_S8_lS4_llllllS8_lll
                                        ; -- End function
	.set _ZN2at6native12_GLOBAL__N_129ctc_loss_log_alpha_gpu_kernelIflEEvPT_PKS3_PKllPKT0_S8_lS4_llllllS8_lll.num_vgpr, 51
	.set _ZN2at6native12_GLOBAL__N_129ctc_loss_log_alpha_gpu_kernelIflEEvPT_PKS3_PKllPKT0_S8_lS4_llllllS8_lll.num_agpr, 0
	.set _ZN2at6native12_GLOBAL__N_129ctc_loss_log_alpha_gpu_kernelIflEEvPT_PKS3_PKllPKT0_S8_lS4_llllllS8_lll.numbered_sgpr, 42
	.set _ZN2at6native12_GLOBAL__N_129ctc_loss_log_alpha_gpu_kernelIflEEvPT_PKS3_PKllPKT0_S8_lS4_llllllS8_lll.num_named_barrier, 0
	.set _ZN2at6native12_GLOBAL__N_129ctc_loss_log_alpha_gpu_kernelIflEEvPT_PKS3_PKllPKT0_S8_lS4_llllllS8_lll.private_seg_size, 0
	.set _ZN2at6native12_GLOBAL__N_129ctc_loss_log_alpha_gpu_kernelIflEEvPT_PKS3_PKllPKT0_S8_lS4_llllllS8_lll.uses_vcc, 1
	.set _ZN2at6native12_GLOBAL__N_129ctc_loss_log_alpha_gpu_kernelIflEEvPT_PKS3_PKllPKT0_S8_lS4_llllllS8_lll.uses_flat_scratch, 0
	.set _ZN2at6native12_GLOBAL__N_129ctc_loss_log_alpha_gpu_kernelIflEEvPT_PKS3_PKllPKT0_S8_lS4_llllllS8_lll.has_dyn_sized_stack, 0
	.set _ZN2at6native12_GLOBAL__N_129ctc_loss_log_alpha_gpu_kernelIflEEvPT_PKS3_PKllPKT0_S8_lS4_llllllS8_lll.has_recursion, 0
	.set _ZN2at6native12_GLOBAL__N_129ctc_loss_log_alpha_gpu_kernelIflEEvPT_PKS3_PKllPKT0_S8_lS4_llllllS8_lll.has_indirect_call, 0
	.section	.AMDGPU.csdata,"",@progbits
; Kernel info:
; codeLenInByte = 2804
; TotalNumSgprs: 44
; NumVgprs: 51
; ScratchSize: 0
; MemoryBound: 0
; FloatMode: 240
; IeeeMode: 1
; LDSByteSize: 0 bytes/workgroup (compile time only)
; SGPRBlocks: 0
; VGPRBlocks: 3
; NumSGPRsForWavesPerEU: 44
; NumVGPRsForWavesPerEU: 51
; NamedBarCnt: 0
; Occupancy: 16
; WaveLimiterHint : 1
; COMPUTE_PGM_RSRC2:SCRATCH_EN: 0
; COMPUTE_PGM_RSRC2:USER_SGPR: 2
; COMPUTE_PGM_RSRC2:TRAP_HANDLER: 0
; COMPUTE_PGM_RSRC2:TGID_X_EN: 1
; COMPUTE_PGM_RSRC2:TGID_Y_EN: 1
; COMPUTE_PGM_RSRC2:TGID_Z_EN: 0
; COMPUTE_PGM_RSRC2:TIDIG_COMP_CNT: 1
	.section	.text._ZN2at6native12_GLOBAL__N_129ctc_loss_log_alpha_gpu_kernelIfiEEvPT_PKS3_PKllPKT0_S8_lS4_llllllS8_lll,"axG",@progbits,_ZN2at6native12_GLOBAL__N_129ctc_loss_log_alpha_gpu_kernelIfiEEvPT_PKS3_PKllPKT0_S8_lS4_llllllS8_lll,comdat
	.globl	_ZN2at6native12_GLOBAL__N_129ctc_loss_log_alpha_gpu_kernelIfiEEvPT_PKS3_PKllPKT0_S8_lS4_llllllS8_lll ; -- Begin function _ZN2at6native12_GLOBAL__N_129ctc_loss_log_alpha_gpu_kernelIfiEEvPT_PKS3_PKllPKT0_S8_lS4_llllllS8_lll
	.p2align	8
	.type	_ZN2at6native12_GLOBAL__N_129ctc_loss_log_alpha_gpu_kernelIfiEEvPT_PKS3_PKllPKT0_S8_lS4_llllllS8_lll,@function
_ZN2at6native12_GLOBAL__N_129ctc_loss_log_alpha_gpu_kernelIfiEEvPT_PKS3_PKllPKT0_S8_lS4_llllllS8_lll: ; @_ZN2at6native12_GLOBAL__N_129ctc_loss_log_alpha_gpu_kernelIfiEEvPT_PKS3_PKllPKT0_S8_lS4_llllllS8_lll
; %bb.0:
	s_clause 0x1
	s_load_u16 s2, s[0:1], 0x9e
	s_load_b128 s[12:15], s[0:1], 0x78
	s_bfe_u32 s3, ttmp6, 0x40010
	s_bfe_u32 s4, ttmp6, 0x40004
	s_add_co_i32 s3, s3, 1
	v_bfe_u32 v1, v0, 10, 10
	s_mul_i32 s3, ttmp7, s3
	v_mov_b32_e32 v3, 0
	s_add_co_i32 s4, s4, s3
	s_getreg_b32 s3, hwreg(HW_REG_IB_STS2, 6, 4)
	s_delay_alu instid0(SALU_CYCLE_1) | instskip(SKIP_4) | instid1(VALU_DEP_1)
	s_cmp_eq_u32 s3, 0
	s_cselect_b32 s3, ttmp7, s4
	s_wait_kmcnt 0x0
	v_mad_u32 v2, s3, s2, v1
	s_mov_b32 s2, exec_lo
	v_cmpx_gt_i64_e64 s[14:15], v[2:3]
	s_cbranch_execz .LBB3_53
; %bb.1:
	s_clause 0x1
	s_load_b64 s[2:3], s[0:1], 0x10
	s_load_b64 s[4:5], s[0:1], 0x28
	v_lshlrev_b64_e32 v[4:5], 3, v[2:3]
	s_load_b64 s[14:15], s[0:1], 0x38
	s_wait_kmcnt 0x0
	s_delay_alu instid0(VALU_DEP_1)
	v_add_nc_u64_e32 v[6:7], s[2:3], v[4:5]
	v_add_nc_u64_e32 v[4:5], s[4:5], v[4:5]
	s_mov_b32 s2, exec_lo
	global_load_b64 v[6:7], v[6:7], off
	global_load_b64 v[4:5], v[4:5], off
	s_wait_loadcnt 0x1
	s_wait_xcnt 0x0
	v_cmpx_ne_u64_e32 0, v[6:7]
	s_xor_b32 s33, exec_lo, s2
	s_cbranch_execz .LBB3_50
; %bb.2:
	s_clause 0x2
	s_load_b64 s[2:3], s[0:1], 0x70
	s_load_b128 s[16:19], s[0:1], 0x60
	s_load_b256 s[4:11], s[0:1], 0x40
	v_and_b32_e32 v0, 0x3ff, v0
	s_add_nc_u64 s[26:27], s[0:1], 0x90
	s_wait_kmcnt 0x0
	v_lshl_add_u64 v[8:9], v[2:3], 3, s[2:3]
	v_mul_u64_e32 v[26:27], s[6:7], v[2:3]
	global_load_b64 v[12:13], v[8:9], off
	s_wait_xcnt 0x0
	v_mul_u64_e32 v[8:9], s[10:11], v[2:3]
	s_clause 0x3
	s_load_b64 s[10:11], s[0:1], 0x30
	s_load_b64 s[24:25], s[0:1], 0x20
	s_load_b128 s[20:23], s[0:1], 0x0
	s_load_b64 s[6:7], s[0:1], 0x88
	s_wait_kmcnt 0x0
	v_cmp_gt_i64_e64 s3, s[10:11], -1
	s_lshl_b64 s[10:11], s[10:11], 1
	s_and_b32 vcc_lo, exec_lo, s3
	v_lshlrev_b64_e32 v[10:11], 2, v[8:9]
	s_wait_loadcnt 0x0
	v_lshl_add_u64 v[12:13], v[12:13], 2, s[24:25]
	s_cbranch_vccz .LBB3_17
; %bb.3:
	v_mov_b32_e32 v1, 0
	s_load_b32 s24, s[26:27], 0xc
	v_cmp_ne_u64_e64 s2, 0, v[4:5]
	s_mul_u64 s[28:29], s[6:7], s[8:9]
	s_mov_b32 s25, 0
	v_mul_u64_e32 v[14:15], s[18:19], v[0:1]
	s_wait_kmcnt 0x0
	s_and_b32 s24, s24, 0xffff
	s_delay_alu instid0(SALU_CYCLE_1) | instskip(NEXT) | instid1(SALU_CYCLE_1)
	s_mul_u64 s[30:31], s[18:19], s[24:25]
	s_lshl_b64 s[30:31], s[30:31], 2
	s_delay_alu instid0(VALU_DEP_1) | instskip(SKIP_1) | instid1(VALU_DEP_2)
	v_lshl_add_u64 v[16:17], v[14:15], 2, v[10:11]
	v_lshl_add_u64 v[14:15], v[26:27], 2, s[22:23]
	v_add_nc_u64_e32 v[16:17], s[20:21], v[16:17]
	s_delay_alu instid0(VALU_DEP_2)
	v_lshl_add_u64 v[18:19], s[28:29], 2, v[14:15]
	s_mov_b64 s[28:29], 0
	s_branch .LBB3_5
.LBB3_4:                                ;   in Loop: Header=BB3_5 Depth=1
	s_wait_xcnt 0x0
	s_or_b32 exec_lo, exec_lo, s34
	s_add_nc_u64 s[28:29], s[28:29], s[24:25]
	v_add_nc_u64_e32 v[16:17], s[30:31], v[16:17]
	v_cmp_gt_i64_e64 s34, s[28:29], s[10:11]
	s_and_b32 vcc_lo, exec_lo, s34
	s_cbranch_vccnz .LBB3_17
.LBB3_5:                                ; =>This Inner Loop Header: Depth=1
	v_add_nc_u64_e32 v[20:21], s[28:29], v[0:1]
	s_mov_b32 s34, exec_lo
                                        ; implicit-def: $vgpr22
	s_delay_alu instid0(VALU_DEP_1)
	v_cmpx_lt_i64_e32 0, v[20:21]
	s_xor_b32 s34, exec_lo, s34
	s_cbranch_execnz .LBB3_8
; %bb.6:                                ;   in Loop: Header=BB3_5 Depth=1
	s_and_not1_saveexec_b32 s34, s34
	s_cbranch_execnz .LBB3_13
.LBB3_7:                                ;   in Loop: Header=BB3_5 Depth=1
	s_or_b32 exec_lo, exec_lo, s34
	s_delay_alu instid0(SALU_CYCLE_1)
	s_mov_b32 s34, exec_lo
	v_cmpx_ge_i64_e64 s[10:11], v[20:21]
	s_cbranch_execz .LBB3_4
	s_branch .LBB3_16
.LBB3_8:                                ;   in Loop: Header=BB3_5 Depth=1
	s_wait_loadcnt 0x0
	v_mov_b32_e32 v22, 0xff800000
	s_mov_b32 s35, exec_lo
	v_cmpx_eq_u64_e32 1, v[20:21]
	s_cbranch_execz .LBB3_12
; %bb.9:                                ;   in Loop: Header=BB3_5 Depth=1
	v_mov_b32_e32 v22, 0xff800000
	s_and_saveexec_b32 s36, s2
	s_cbranch_execz .LBB3_11
; %bb.10:                               ;   in Loop: Header=BB3_5 Depth=1
	global_load_b32 v22, v[12:13], off
	s_wait_loadcnt 0x0
	v_ashrrev_i32_e32 v23, 31, v22
	s_delay_alu instid0(VALU_DEP_1) | instskip(NEXT) | instid1(VALU_DEP_1)
	v_mul_u64_e32 v[22:23], s[8:9], v[22:23]
	v_lshl_add_u64 v[22:23], v[22:23], 2, v[14:15]
	global_load_b32 v22, v[22:23], off
.LBB3_11:                               ;   in Loop: Header=BB3_5 Depth=1
	s_wait_xcnt 0x0
	s_or_b32 exec_lo, exec_lo, s36
.LBB3_12:                               ;   in Loop: Header=BB3_5 Depth=1
	s_delay_alu instid0(SALU_CYCLE_1)
	s_or_b32 exec_lo, exec_lo, s35
	s_and_not1_saveexec_b32 s34, s34
	s_cbranch_execz .LBB3_7
.LBB3_13:                               ;   in Loop: Header=BB3_5 Depth=1
	s_wait_loadcnt 0x0
	v_mov_b32_e32 v22, 0xff800000
	s_mov_b32 s35, exec_lo
	v_cmpx_eq_u64_e32 0, v[20:21]
	s_cbranch_execz .LBB3_15
; %bb.14:                               ;   in Loop: Header=BB3_5 Depth=1
	global_load_b32 v22, v[18:19], off
.LBB3_15:                               ;   in Loop: Header=BB3_5 Depth=1
	s_wait_xcnt 0x0
	s_or_b32 exec_lo, exec_lo, s35
	s_delay_alu instid0(SALU_CYCLE_1) | instskip(NEXT) | instid1(SALU_CYCLE_1)
	s_or_b32 exec_lo, exec_lo, s34
	s_mov_b32 s34, exec_lo
	v_cmpx_ge_i64_e64 s[10:11], v[20:21]
	s_cbranch_execz .LBB3_4
.LBB3_16:                               ;   in Loop: Header=BB3_5 Depth=1
	s_wait_loadcnt 0x0
	global_store_b32 v[16:17], v22, off
	s_branch .LBB3_4
.LBB3_17:
	v_cmp_lt_i64_e64 s2, 0, v[4:5]
	s_and_not1_b32 vcc_lo, exec_lo, s3
	s_cbranch_vccnz .LBB3_45
; %bb.18:
	v_mov_b32_e32 v15, 0
	s_load_b32 s3, s[26:27], 0xc
	s_load_b64 s[24:25], s[0:1], 0x18
	s_lshl_b64 s[28:29], s[16:17], 2
	s_lshl_b64 s[4:5], s[4:5], 2
	s_wait_xcnt 0x0
	s_add_nc_u64 s[0:1], s[20:21], s[28:29]
	v_mov_b32_e32 v1, v15
	s_add_nc_u64 s[22:23], s[22:23], s[4:5]
	s_mov_b32 s27, 0
	v_lshl_add_u64 v[26:27], v[26:27], 2, s[22:23]
	s_mov_b64 s[22:23], 0
	v_mul_u64_e32 v[18:19], s[18:19], v[0:1]
	v_add_nc_u64_e32 v[16:17], -2, v[0:1]
	v_add_nc_u64_e32 v[20:21], -1, v[0:1]
	s_lshl_b64 s[8:9], s[8:9], 2
	s_wait_loadcnt 0x0
	s_delay_alu instid0(VALU_DEP_2) | instskip(NEXT) | instid1(VALU_DEP_2)
	v_mul_u64_e32 v[22:23], s[18:19], v[16:17]
	v_mul_u64_e32 v[24:25], s[18:19], v[20:21]
	v_lshlrev_b64_e32 v[16:17], 1, v[4:5]
	s_wait_kmcnt 0x0
	v_cmp_gt_i64_e64 s36, s[24:25], 1
	s_and_b32 s26, s3, 0xffff
	s_delay_alu instid0(SALU_CYCLE_1) | instskip(NEXT) | instid1(SALU_CYCLE_1)
	s_mul_u64 s[30:31], s[18:19], s[26:27]
	s_lshl_b64 s[30:31], s[30:31], 2
	v_lshlrev_b64_e32 v[20:21], 2, v[18:19]
	s_delay_alu instid0(VALU_DEP_1)
	v_add_nc_u64_e32 v[18:19], s[0:1], v[20:21]
	v_add_nc_u64_e32 v[20:21], s[20:21], v[20:21]
	v_lshl_add_u64 v[22:23], v[22:23], 2, s[20:21]
	v_lshl_add_u64 v[24:25], v[24:25], 2, s[20:21]
	s_branch .LBB3_20
.LBB3_19:                               ;   in Loop: Header=BB3_20 Depth=1
	s_add_nc_u64 s[22:23], s[22:23], s[26:27]
	v_add_nc_u64_e32 v[18:19], s[30:31], v[18:19]
	v_cmp_gt_i64_e64 s0, s[22:23], s[10:11]
	v_add_nc_u64_e32 v[20:21], s[30:31], v[20:21]
	v_add_nc_u64_e32 v[22:23], s[30:31], v[22:23]
	;; [unrolled: 1-line block ×3, first 2 shown]
	s_and_b32 vcc_lo, exec_lo, s0
	s_cbranch_vccnz .LBB3_45
.LBB3_20:                               ; =>This Loop Header: Depth=1
                                        ;     Child Loop BB3_31 Depth 2
	v_add_nc_u64_e32 v[30:31], s[22:23], v[0:1]
	v_mov_b64_e32 v[32:33], s[6:7]
	s_mov_b32 s37, 0
	s_delay_alu instid0(VALU_DEP_2) | instskip(SKIP_1) | instid1(SALU_CYCLE_1)
	v_cmp_le_i64_e64 s1, v[30:31], v[16:17]
	s_and_b32 s0, s2, s1
	s_and_saveexec_b32 s3, s0
	s_cbranch_execz .LBB3_28
; %bb.21:                               ;   in Loop: Header=BB3_20 Depth=1
	v_and_b32_e32 v14, 1, v30
	v_mov_b64_e32 v[32:33], s[6:7]
	s_delay_alu instid0(VALU_DEP_2)
	v_cmp_eq_u32_e32 vcc_lo, 1, v14
	s_and_saveexec_b32 s0, vcc_lo
	s_cbranch_execz .LBB3_23
; %bb.22:                               ;   in Loop: Header=BB3_20 Depth=1
	v_lshrrev_b64 v[28:29], 1, v[30:31]
	s_delay_alu instid0(VALU_DEP_1) | instskip(NEXT) | instid1(VALU_DEP_1)
	v_mul_u64_e32 v[28:29], s[12:13], v[28:29]
	v_lshl_add_u64 v[28:29], v[28:29], 2, v[12:13]
	global_load_b32 v32, v[28:29], off
	s_wait_loadcnt 0x0
	v_ashrrev_i32_e32 v33, 31, v32
.LBB3_23:                               ;   in Loop: Header=BB3_20 Depth=1
	s_wait_xcnt 0x0
	s_or_b32 exec_lo, exec_lo, s0
	s_mov_b32 s35, 0
	s_mov_b32 s34, exec_lo
	v_cmpx_lt_u64_e32 1, v[30:31]
	s_cbranch_execz .LBB3_27
; %bb.24:                               ;   in Loop: Header=BB3_20 Depth=1
	v_mov_b64_e32 v[28:29], s[6:7]
	s_and_saveexec_b32 s0, vcc_lo
	s_cbranch_execz .LBB3_26
; %bb.25:                               ;   in Loop: Header=BB3_20 Depth=1
	v_add_nc_u64_e32 v[28:29], -2, v[30:31]
	s_delay_alu instid0(VALU_DEP_1) | instskip(NEXT) | instid1(VALU_DEP_1)
	v_lshrrev_b32_e32 v14, 31, v29
	v_add_nc_u64_e32 v[28:29], v[28:29], v[14:15]
	s_delay_alu instid0(VALU_DEP_1) | instskip(NEXT) | instid1(VALU_DEP_1)
	v_lshrrev_b64 v[28:29], 1, v[28:29]
	v_mul_u64_e32 v[28:29], s[12:13], v[28:29]
	s_delay_alu instid0(VALU_DEP_1)
	v_lshl_add_u64 v[28:29], v[28:29], 2, v[12:13]
	global_load_b32 v28, v[28:29], off
	s_wait_loadcnt 0x0
	v_ashrrev_i32_e32 v29, 31, v28
.LBB3_26:                               ;   in Loop: Header=BB3_20 Depth=1
	s_or_b32 exec_lo, exec_lo, s0
	s_delay_alu instid0(VALU_DEP_1)
	v_cmp_ne_u64_e32 vcc_lo, v[28:29], v[32:33]
	s_and_b32 s35, vcc_lo, exec_lo
.LBB3_27:                               ;   in Loop: Header=BB3_20 Depth=1
	s_or_b32 exec_lo, exec_lo, s34
	s_delay_alu instid0(SALU_CYCLE_1)
	s_and_b32 s37, s35, exec_lo
.LBB3_28:                               ;   in Loop: Header=BB3_20 Depth=1
	s_or_b32 exec_lo, exec_lo, s3
	s_delay_alu instid0(SALU_CYCLE_1)
	s_and_not1_b32 vcc_lo, exec_lo, s36
	s_cbranch_vccnz .LBB3_19
; %bb.29:                               ;   in Loop: Header=BB3_20 Depth=1
	v_mad_nc_u64_u32 v[28:29], s8, v32, v[26:27]
	v_cmp_ge_i64_e32 vcc_lo, s[10:11], v[30:31]
	v_cmp_ne_u64_e64 s0, 0, v[30:31]
	v_mov_b64_e32 v[30:31], v[24:25]
	v_mov_b64_e32 v[34:35], v[20:21]
	;; [unrolled: 1-line block ×3, first 2 shown]
	s_mov_b64 s[34:35], 1
	s_xor_b32 s38, s1, -1
	v_mad_u32 v14, s9, v32, v29
	s_delay_alu instid0(VALU_DEP_1)
	v_mad_u32 v29, s8, v33, v14
	v_mov_b64_e32 v[32:33], v[22:23]
	s_branch .LBB3_31
.LBB3_30:                               ;   in Loop: Header=BB3_31 Depth=2
	s_wait_xcnt 0x0
	s_or_b32 exec_lo, exec_lo, s1
	v_add_nc_u64_e32 v[36:37], s[28:29], v[36:37]
	v_add_nc_u64_e32 v[34:35], s[28:29], v[34:35]
	;; [unrolled: 1-line block ×5, first 2 shown]
	s_add_nc_u64 s[34:35], s[34:35], 1
	s_delay_alu instid0(SALU_CYCLE_1)
	s_cmp_eq_u64 s[24:25], s[34:35]
	s_cbranch_scc1 .LBB3_19
.LBB3_31:                               ;   Parent Loop BB3_20 Depth=1
                                        ; =>  This Inner Loop Header: Depth=2
	v_cmp_ge_i64_e64 s1, s[34:35], v[6:7]
	s_mov_b32 s39, 0
	s_wait_storecnt 0x0
	s_barrier_signal -1
	s_barrier_wait -1
	s_or_b32 s1, s38, s1
	s_delay_alu instid0(SALU_CYCLE_1) | instskip(NEXT) | instid1(SALU_CYCLE_1)
	s_and_saveexec_b32 s3, s1
	s_xor_b32 s1, exec_lo, s3
	s_cbranch_execnz .LBB3_34
; %bb.32:                               ;   in Loop: Header=BB3_31 Depth=2
	s_or_saveexec_b32 s40, s1
	v_mov_b32_e32 v14, 0xff800000
	s_xor_b32 exec_lo, exec_lo, s40
	s_cbranch_execnz .LBB3_35
.LBB3_33:                               ;   in Loop: Header=BB3_31 Depth=2
	s_or_b32 exec_lo, exec_lo, s40
	s_and_saveexec_b32 s1, s39
	s_cbranch_execz .LBB3_30
	s_branch .LBB3_44
.LBB3_34:                               ;   in Loop: Header=BB3_31 Depth=2
	s_and_b32 s39, vcc_lo, exec_lo
	s_or_saveexec_b32 s40, s1
	v_mov_b32_e32 v14, 0xff800000
	s_xor_b32 exec_lo, exec_lo, s40
	s_cbranch_execz .LBB3_33
.LBB3_35:                               ;   in Loop: Header=BB3_31 Depth=2
	v_add_nc_u64_e32 v[38:39], v[34:35], v[10:11]
	v_mov_b32_e32 v14, 0xff800000
	global_load_b32 v38, v[38:39], off
	s_wait_loadcnt 0x0
	v_dual_mov_b32 v39, 0xff800000 :: v_dual_mov_b32 v40, v38
	s_and_saveexec_b32 s3, s0
	s_cbranch_execz .LBB3_39
; %bb.36:                               ;   in Loop: Header=BB3_31 Depth=2
	v_add_nc_u64_e32 v[40:41], v[30:31], v[10:11]
	s_mov_b32 s41, exec_lo
	global_load_b32 v39, v[40:41], off
	s_wait_xcnt 0x0
	v_mov_b32_e32 v40, v38
	s_wait_loadcnt 0x0
	v_cmpx_gt_f32_e32 v39, v38
; %bb.37:                               ;   in Loop: Header=BB3_31 Depth=2
	v_mov_b32_e32 v40, v39
; %bb.38:                               ;   in Loop: Header=BB3_31 Depth=2
	s_or_b32 exec_lo, exec_lo, s41
.LBB3_39:                               ;   in Loop: Header=BB3_31 Depth=2
	s_delay_alu instid0(SALU_CYCLE_1)
	s_or_b32 exec_lo, exec_lo, s3
	s_and_saveexec_b32 s3, s37
	s_cbranch_execz .LBB3_43
; %bb.40:                               ;   in Loop: Header=BB3_31 Depth=2
	v_add_nc_u64_e32 v[42:43], v[32:33], v[10:11]
	s_mov_b32 s41, exec_lo
	global_load_b32 v14, v[42:43], off
	s_wait_loadcnt 0x0
	v_cmpx_gt_f32_e32 v14, v40
; %bb.41:                               ;   in Loop: Header=BB3_31 Depth=2
	v_mov_b32_e32 v40, v14
; %bb.42:                               ;   in Loop: Header=BB3_31 Depth=2
	s_or_b32 exec_lo, exec_lo, s41
.LBB3_43:                               ;   in Loop: Header=BB3_31 Depth=2
	s_delay_alu instid0(SALU_CYCLE_1) | instskip(SKIP_4) | instid1(VALU_DEP_1)
	s_or_b32 exec_lo, exec_lo, s3
	global_load_b32 v41, v[28:29], off
	v_cmp_neq_f32_e64 s1, 0xff800000, v40
	s_or_b32 s39, s39, exec_lo
	v_cndmask_b32_e64 v40, 0, v40, s1
	v_sub_f32_e32 v38, v38, v40
	s_delay_alu instid0(VALU_DEP_1) | instskip(NEXT) | instid1(VALU_DEP_1)
	v_mul_f32_e32 v42, 0x3fb8aa3b, v38
	v_rndne_f32_e32 v45, v42
	v_fma_f32 v44, 0x3fb8aa3b, v38, -v42
	s_delay_alu instid0(VALU_DEP_2) | instskip(NEXT) | instid1(VALU_DEP_2)
	v_dual_sub_f32 v42, v42, v45 :: v_dual_sub_f32 v39, v39, v40
	v_fmac_f32_e32 v44, 0x32a5705f, v38
	v_cvt_i32_f32_e32 v45, v45
	v_cmp_ngt_f32_e64 s1, 0xc2ce8ed0, v38
	s_delay_alu instid0(VALU_DEP_4) | instskip(NEXT) | instid1(VALU_DEP_1)
	v_mul_f32_e32 v43, 0x3fb8aa3b, v39
	v_rndne_f32_e32 v47, v43
	v_sub_f32_e32 v14, v14, v40
	v_fma_f32 v46, 0x3fb8aa3b, v39, -v43
	s_delay_alu instid0(VALU_DEP_2) | instskip(NEXT) | instid1(VALU_DEP_1)
	v_dual_sub_f32 v43, v43, v47 :: v_dual_mul_f32 v48, 0x3fb8aa3b, v14
	v_fma_f32 v49, 0x3fb8aa3b, v14, -v48
	s_delay_alu instid0(VALU_DEP_3) | instskip(SKIP_1) | instid1(VALU_DEP_3)
	v_fmac_f32_e32 v46, 0x32a5705f, v39
	v_rndne_f32_e32 v50, v48
	v_dual_fmac_f32 v49, 0x32a5705f, v14 :: v_dual_add_f32 v42, v42, v44
	s_delay_alu instid0(VALU_DEP_3) | instskip(SKIP_1) | instid1(VALU_DEP_3)
	v_add_f32_e32 v43, v43, v46
	v_cvt_i32_f32_e32 v46, v47
	v_exp_f32_e32 v42, v42
	s_delay_alu instid0(VALU_DEP_2) | instskip(NEXT) | instid1(TRANS32_DEP_2)
	v_exp_f32_e32 v43, v43
	v_ldexp_f32 v42, v42, v45
	s_delay_alu instid0(TRANS32_DEP_1) | instskip(SKIP_1) | instid1(VALU_DEP_3)
	v_ldexp_f32 v43, v43, v46
	v_cvt_i32_f32_e32 v45, v50
	v_cndmask_b32_e64 v42, 0, v42, s1
	v_cmp_ngt_f32_e64 s1, 0xc2ce8ed0, v39
	s_delay_alu instid0(VALU_DEP_1) | instskip(SKIP_1) | instid1(VALU_DEP_1)
	v_dual_sub_f32 v44, v48, v50 :: v_dual_cndmask_b32 v43, 0, v43, s1
	v_cmp_nlt_f32_e64 s1, 0x42b17218, v38
	v_cndmask_b32_e64 v38, 0x7f800000, v42, s1
	v_cmp_nlt_f32_e64 s1, 0x42b17218, v39
	s_delay_alu instid0(VALU_DEP_1) | instskip(SKIP_2) | instid1(VALU_DEP_3)
	v_cndmask_b32_e64 v39, 0x7f800000, v43, s1
	v_add_f32_e32 v44, v44, v49
	v_cmp_ngt_f32_e64 s1, 0xc2ce8ed0, v14
	v_add_f32_e32 v38, v38, v39
	s_delay_alu instid0(VALU_DEP_3) | instskip(SKIP_1) | instid1(TRANS32_DEP_1)
	v_exp_f32_e32 v44, v44
	v_nop
	v_ldexp_f32 v44, v44, v45
	s_delay_alu instid0(VALU_DEP_1) | instskip(SKIP_1) | instid1(VALU_DEP_1)
	v_cndmask_b32_e64 v42, 0, v44, s1
	v_cmp_nlt_f32_e64 s1, 0x42b17218, v14
	v_cndmask_b32_e64 v14, 0x7f800000, v42, s1
	s_delay_alu instid0(VALU_DEP_1) | instskip(NEXT) | instid1(VALU_DEP_1)
	v_add_f32_e32 v14, v14, v38
	v_cmp_gt_f32_e64 s1, 0x800000, v14
	s_delay_alu instid0(VALU_DEP_1) | instskip(NEXT) | instid1(VALU_DEP_1)
	v_cndmask_b32_e64 v38, 0, 32, s1
	v_ldexp_f32 v14, v14, v38
	s_delay_alu instid0(VALU_DEP_1) | instskip(SKIP_1) | instid1(TRANS32_DEP_1)
	v_log_f32_e32 v14, v14
	v_nop
	v_mul_f32_e32 v38, 0x3f317217, v14
	v_cmp_gt_f32_e64 s3, 0x7f800000, |v14|
	s_delay_alu instid0(VALU_DEP_2) | instskip(NEXT) | instid1(VALU_DEP_1)
	v_fma_f32 v38, 0x3f317217, v14, -v38
	v_fmac_f32_e32 v38, 0x3377d1cf, v14
	s_delay_alu instid0(VALU_DEP_1) | instskip(NEXT) | instid1(VALU_DEP_1)
	v_fmac_f32_e32 v38, 0x3f317217, v14
	v_cndmask_b32_e64 v14, v14, v38, s3
	v_cndmask_b32_e64 v38, 0, 0x41b17218, s1
	s_delay_alu instid0(VALU_DEP_1) | instskip(NEXT) | instid1(VALU_DEP_1)
	v_sub_f32_e32 v14, v14, v38
	v_add_f32_e32 v14, v40, v14
	s_wait_loadcnt 0x0
	s_delay_alu instid0(VALU_DEP_1)
	v_add_f32_e32 v14, v41, v14
	s_or_b32 exec_lo, exec_lo, s40
	s_and_saveexec_b32 s1, s39
	s_cbranch_execz .LBB3_30
.LBB3_44:                               ;   in Loop: Header=BB3_31 Depth=2
	v_add_nc_u64_e32 v[38:39], v[36:37], v[10:11]
	global_store_b32 v[38:39], v14, off
	s_branch .LBB3_30
.LBB3_45:
	s_mov_b32 s0, exec_lo
	s_wait_loadcnt 0x0
	s_wait_storecnt 0x0
	s_barrier_signal -1
	s_barrier_wait -1
	v_cmpx_eq_u32_e32 0, v0
	s_cbranch_execz .LBB3_49
; %bb.46:
	v_add_nc_u64_e32 v[0:1], -1, v[6:7]
	v_mul_u64_e32 v[6:7], s[18:19], v[4:5]
	v_lshl_add_u64 v[8:9], v[8:9], 2, s[20:21]
	v_cmp_lt_i64_e32 vcc_lo, 0, v[4:5]
	v_mov_b32_e32 v4, 0xff800000
	v_mul_u64_e32 v[0:1], s[16:17], v[0:1]
	s_delay_alu instid0(VALU_DEP_1) | instskip(NEXT) | instid1(VALU_DEP_1)
	v_lshl_add_u64 v[0:1], v[0:1], 2, v[8:9]
	v_lshl_add_u64 v[8:9], v[6:7], 3, v[0:1]
	global_load_b32 v8, v[8:9], off
	s_wait_xcnt 0x0
	s_and_saveexec_b32 s1, vcc_lo
	s_cbranch_execz .LBB3_48
; %bb.47:
	v_lshlrev_b64_e32 v[4:5], 1, v[6:7]
	s_delay_alu instid0(VALU_DEP_1) | instskip(NEXT) | instid1(VALU_DEP_1)
	v_sub_nc_u64_e64 v[4:5], v[4:5], s[18:19]
	v_lshl_add_u64 v[0:1], v[4:5], 2, v[0:1]
	global_load_b32 v4, v[0:1], off
.LBB3_48:
	s_wait_xcnt 0x0
	s_or_b32 exec_lo, exec_lo, s1
	s_wait_loadcnt 0x0
	v_cmp_gt_f32_e32 vcc_lo, v8, v4
	v_cndmask_b32_e32 v0, v4, v8, vcc_lo
	s_delay_alu instid0(VALU_DEP_1) | instskip(SKIP_1) | instid1(VALU_DEP_1)
	v_cmp_neq_f32_e32 vcc_lo, 0xff800000, v0
	v_cndmask_b32_e32 v0, 0, v0, vcc_lo
	v_sub_f32_e32 v1, v8, v0
	s_delay_alu instid0(VALU_DEP_1) | instskip(NEXT) | instid1(VALU_DEP_1)
	v_mul_f32_e32 v5, 0x3fb8aa3b, v1
	v_fma_f32 v7, 0x3fb8aa3b, v1, -v5
	v_rndne_f32_e32 v8, v5
	s_delay_alu instid0(VALU_DEP_2) | instskip(NEXT) | instid1(VALU_DEP_2)
	v_fmac_f32_e32 v7, 0x32a5705f, v1
	v_sub_f32_e32 v5, v5, v8
	s_delay_alu instid0(VALU_DEP_1) | instskip(SKIP_1) | instid1(VALU_DEP_2)
	v_dual_sub_f32 v4, v4, v0 :: v_dual_add_f32 v5, v5, v7
	v_cvt_i32_f32_e32 v7, v8
	v_exp_f32_e32 v5, v5
	v_nop
	s_delay_alu instid0(TRANS32_DEP_1) | instskip(SKIP_1) | instid1(VALU_DEP_1)
	v_ldexp_f32 v5, v5, v7
	v_mul_f32_e32 v6, 0x3fb8aa3b, v4
	v_rndne_f32_e32 v10, v6
	v_fma_f32 v9, 0x3fb8aa3b, v4, -v6
	s_delay_alu instid0(VALU_DEP_2)
	v_sub_f32_e32 v6, v6, v10
	v_cmp_ngt_f32_e32 vcc_lo, 0xc2ce8ed0, v1
	v_cvt_i32_f32_e32 v8, v10
	v_cndmask_b32_e32 v5, 0, v5, vcc_lo
	v_cmp_ngt_f32_e32 vcc_lo, 0xc2ce8ed0, v4
	v_fmac_f32_e32 v9, 0x32a5705f, v4
	s_delay_alu instid0(VALU_DEP_1) | instskip(NEXT) | instid1(VALU_DEP_1)
	v_add_f32_e32 v6, v6, v9
	v_exp_f32_e32 v6, v6
	v_nop
	s_delay_alu instid0(TRANS32_DEP_1) | instskip(NEXT) | instid1(VALU_DEP_1)
	v_ldexp_f32 v6, v6, v8
	v_cndmask_b32_e32 v6, 0, v6, vcc_lo
	v_cmp_nlt_f32_e32 vcc_lo, 0x42b17218, v1
	v_cndmask_b32_e32 v1, 0x7f800000, v5, vcc_lo
	v_cmp_nlt_f32_e32 vcc_lo, 0x42b17218, v4
	s_delay_alu instid0(VALU_DEP_4) | instskip(NEXT) | instid1(VALU_DEP_1)
	v_cndmask_b32_e32 v4, 0x7f800000, v6, vcc_lo
	v_add_f32_e32 v1, v1, v4
	s_delay_alu instid0(VALU_DEP_1) | instskip(SKIP_2) | instid1(VALU_DEP_2)
	v_cmp_gt_f32_e32 vcc_lo, 0x800000, v1
	v_cndmask_b32_e64 v4, 0, 32, vcc_lo
	v_cndmask_b32_e64 v5, 0, 0x41b17218, vcc_lo
	v_ldexp_f32 v1, v1, v4
	s_delay_alu instid0(VALU_DEP_1) | instskip(SKIP_1) | instid1(TRANS32_DEP_1)
	v_log_f32_e32 v1, v1
	v_nop
	v_mul_f32_e32 v4, 0x3f317217, v1
	v_cmp_gt_f32_e64 vcc_lo, 0x7f800000, |v1|
	s_delay_alu instid0(VALU_DEP_2) | instskip(NEXT) | instid1(VALU_DEP_1)
	v_fma_f32 v4, 0x3f317217, v1, -v4
	v_fmamk_f32 v4, v1, 0x3377d1cf, v4
	s_delay_alu instid0(VALU_DEP_1) | instskip(NEXT) | instid1(VALU_DEP_1)
	v_fmac_f32_e32 v4, 0x3f317217, v1
	v_cndmask_b32_e32 v1, v1, v4, vcc_lo
	s_delay_alu instid0(VALU_DEP_1) | instskip(NEXT) | instid1(VALU_DEP_1)
	v_sub_f32_e32 v1, v1, v5
	v_add_f32_e32 v0, v0, v1
	s_delay_alu instid0(VALU_DEP_1)
	v_xor_b32_e32 v4, 0x80000000, v0
	v_lshl_add_u64 v[0:1], v[2:3], 2, s[14:15]
	global_store_b32 v[0:1], v4, off
.LBB3_49:
	s_wait_xcnt 0x0
	s_or_b32 exec_lo, exec_lo, s0
                                        ; implicit-def: $vgpr0
                                        ; implicit-def: $vgpr2_vgpr3
                                        ; implicit-def: $vgpr4_vgpr5
.LBB3_50:
	s_and_not1_saveexec_b32 s0, s33
	s_cbranch_execz .LBB3_53
; %bb.51:
	v_and_b32_e32 v0, 0x3ff, v0
	s_delay_alu instid0(VALU_DEP_1)
	v_cmp_eq_u32_e32 vcc_lo, 0, v0
	s_and_b32 exec_lo, exec_lo, vcc_lo
	s_cbranch_execz .LBB3_53
; %bb.52:
	s_wait_loadcnt 0x0
	v_cmp_eq_u64_e32 vcc_lo, 0, v[4:5]
	v_bfrev_b32_e32 v6, 1
	v_lshl_add_u64 v[0:1], v[2:3], 2, s[14:15]
	s_delay_alu instid0(VALU_DEP_2)
	v_cndmask_b32_e32 v2, 0x7f800000, v6, vcc_lo
	global_store_b32 v[0:1], v2, off
.LBB3_53:
	s_endpgm
	.section	.rodata,"a",@progbits
	.p2align	6, 0x0
	.amdhsa_kernel _ZN2at6native12_GLOBAL__N_129ctc_loss_log_alpha_gpu_kernelIfiEEvPT_PKS3_PKllPKT0_S8_lS4_llllllS8_lll
		.amdhsa_group_segment_fixed_size 0
		.amdhsa_private_segment_fixed_size 0
		.amdhsa_kernarg_size 400
		.amdhsa_user_sgpr_count 2
		.amdhsa_user_sgpr_dispatch_ptr 0
		.amdhsa_user_sgpr_queue_ptr 0
		.amdhsa_user_sgpr_kernarg_segment_ptr 1
		.amdhsa_user_sgpr_dispatch_id 0
		.amdhsa_user_sgpr_kernarg_preload_length 0
		.amdhsa_user_sgpr_kernarg_preload_offset 0
		.amdhsa_user_sgpr_private_segment_size 0
		.amdhsa_wavefront_size32 1
		.amdhsa_uses_dynamic_stack 0
		.amdhsa_enable_private_segment 0
		.amdhsa_system_sgpr_workgroup_id_x 1
		.amdhsa_system_sgpr_workgroup_id_y 1
		.amdhsa_system_sgpr_workgroup_id_z 0
		.amdhsa_system_sgpr_workgroup_info 0
		.amdhsa_system_vgpr_workitem_id 1
		.amdhsa_next_free_vgpr 51
		.amdhsa_next_free_sgpr 42
		.amdhsa_named_barrier_count 0
		.amdhsa_reserve_vcc 1
		.amdhsa_float_round_mode_32 0
		.amdhsa_float_round_mode_16_64 0
		.amdhsa_float_denorm_mode_32 3
		.amdhsa_float_denorm_mode_16_64 3
		.amdhsa_fp16_overflow 0
		.amdhsa_memory_ordered 1
		.amdhsa_forward_progress 1
		.amdhsa_inst_pref_size 22
		.amdhsa_round_robin_scheduling 0
		.amdhsa_exception_fp_ieee_invalid_op 0
		.amdhsa_exception_fp_denorm_src 0
		.amdhsa_exception_fp_ieee_div_zero 0
		.amdhsa_exception_fp_ieee_overflow 0
		.amdhsa_exception_fp_ieee_underflow 0
		.amdhsa_exception_fp_ieee_inexact 0
		.amdhsa_exception_int_div_zero 0
	.end_amdhsa_kernel
	.section	.text._ZN2at6native12_GLOBAL__N_129ctc_loss_log_alpha_gpu_kernelIfiEEvPT_PKS3_PKllPKT0_S8_lS4_llllllS8_lll,"axG",@progbits,_ZN2at6native12_GLOBAL__N_129ctc_loss_log_alpha_gpu_kernelIfiEEvPT_PKS3_PKllPKT0_S8_lS4_llllllS8_lll,comdat
.Lfunc_end3:
	.size	_ZN2at6native12_GLOBAL__N_129ctc_loss_log_alpha_gpu_kernelIfiEEvPT_PKS3_PKllPKT0_S8_lS4_llllllS8_lll, .Lfunc_end3-_ZN2at6native12_GLOBAL__N_129ctc_loss_log_alpha_gpu_kernelIfiEEvPT_PKS3_PKllPKT0_S8_lS4_llllllS8_lll
                                        ; -- End function
	.set _ZN2at6native12_GLOBAL__N_129ctc_loss_log_alpha_gpu_kernelIfiEEvPT_PKS3_PKllPKT0_S8_lS4_llllllS8_lll.num_vgpr, 51
	.set _ZN2at6native12_GLOBAL__N_129ctc_loss_log_alpha_gpu_kernelIfiEEvPT_PKS3_PKllPKT0_S8_lS4_llllllS8_lll.num_agpr, 0
	.set _ZN2at6native12_GLOBAL__N_129ctc_loss_log_alpha_gpu_kernelIfiEEvPT_PKS3_PKllPKT0_S8_lS4_llllllS8_lll.numbered_sgpr, 42
	.set _ZN2at6native12_GLOBAL__N_129ctc_loss_log_alpha_gpu_kernelIfiEEvPT_PKS3_PKllPKT0_S8_lS4_llllllS8_lll.num_named_barrier, 0
	.set _ZN2at6native12_GLOBAL__N_129ctc_loss_log_alpha_gpu_kernelIfiEEvPT_PKS3_PKllPKT0_S8_lS4_llllllS8_lll.private_seg_size, 0
	.set _ZN2at6native12_GLOBAL__N_129ctc_loss_log_alpha_gpu_kernelIfiEEvPT_PKS3_PKllPKT0_S8_lS4_llllllS8_lll.uses_vcc, 1
	.set _ZN2at6native12_GLOBAL__N_129ctc_loss_log_alpha_gpu_kernelIfiEEvPT_PKS3_PKllPKT0_S8_lS4_llllllS8_lll.uses_flat_scratch, 0
	.set _ZN2at6native12_GLOBAL__N_129ctc_loss_log_alpha_gpu_kernelIfiEEvPT_PKS3_PKllPKT0_S8_lS4_llllllS8_lll.has_dyn_sized_stack, 0
	.set _ZN2at6native12_GLOBAL__N_129ctc_loss_log_alpha_gpu_kernelIfiEEvPT_PKS3_PKllPKT0_S8_lS4_llllllS8_lll.has_recursion, 0
	.set _ZN2at6native12_GLOBAL__N_129ctc_loss_log_alpha_gpu_kernelIfiEEvPT_PKS3_PKllPKT0_S8_lS4_llllllS8_lll.has_indirect_call, 0
	.section	.AMDGPU.csdata,"",@progbits
; Kernel info:
; codeLenInByte = 2808
; TotalNumSgprs: 44
; NumVgprs: 51
; ScratchSize: 0
; MemoryBound: 0
; FloatMode: 240
; IeeeMode: 1
; LDSByteSize: 0 bytes/workgroup (compile time only)
; SGPRBlocks: 0
; VGPRBlocks: 3
; NumSGPRsForWavesPerEU: 44
; NumVGPRsForWavesPerEU: 51
; NamedBarCnt: 0
; Occupancy: 16
; WaveLimiterHint : 1
; COMPUTE_PGM_RSRC2:SCRATCH_EN: 0
; COMPUTE_PGM_RSRC2:USER_SGPR: 2
; COMPUTE_PGM_RSRC2:TRAP_HANDLER: 0
; COMPUTE_PGM_RSRC2:TGID_X_EN: 1
; COMPUTE_PGM_RSRC2:TGID_Y_EN: 1
; COMPUTE_PGM_RSRC2:TGID_Z_EN: 0
; COMPUTE_PGM_RSRC2:TIDIG_COMP_CNT: 1
	.section	.text._ZN2at6native12_GLOBAL__N_137ctc_loss_backward_log_beta_gpu_kernelIdlEEvPT_PKS3_PKllPKT0_S8_lllllllS8_lll,"axG",@progbits,_ZN2at6native12_GLOBAL__N_137ctc_loss_backward_log_beta_gpu_kernelIdlEEvPT_PKS3_PKllPKT0_S8_lllllllS8_lll,comdat
	.globl	_ZN2at6native12_GLOBAL__N_137ctc_loss_backward_log_beta_gpu_kernelIdlEEvPT_PKS3_PKllPKT0_S8_lllllllS8_lll ; -- Begin function _ZN2at6native12_GLOBAL__N_137ctc_loss_backward_log_beta_gpu_kernelIdlEEvPT_PKS3_PKllPKT0_S8_lllllllS8_lll
	.p2align	8
	.type	_ZN2at6native12_GLOBAL__N_137ctc_loss_backward_log_beta_gpu_kernelIdlEEvPT_PKS3_PKllPKT0_S8_lllllllS8_lll,@function
_ZN2at6native12_GLOBAL__N_137ctc_loss_backward_log_beta_gpu_kernelIdlEEvPT_PKS3_PKllPKT0_S8_lllllllS8_lll: ; @_ZN2at6native12_GLOBAL__N_137ctc_loss_backward_log_beta_gpu_kernelIdlEEvPT_PKS3_PKllPKT0_S8_lllllllS8_lll
; %bb.0:
	s_clause 0x1
	s_load_u16 s2, s[0:1], 0x96
	s_load_b128 s[20:23], s[0:1], 0x70
	s_bfe_u32 s3, ttmp6, 0x40010
	s_bfe_u32 s4, ttmp6, 0x40004
	s_add_co_i32 s3, s3, 1
	v_bfe_u32 v1, v0, 10, 10
	s_mul_i32 s3, ttmp7, s3
	v_mov_b32_e32 v11, 0
	s_add_co_i32 s4, s4, s3
	s_getreg_b32 s3, hwreg(HW_REG_IB_STS2, 6, 4)
	s_delay_alu instid0(SALU_CYCLE_1) | instskip(SKIP_4) | instid1(VALU_DEP_1)
	s_cmp_eq_u32 s3, 0
	s_cselect_b32 s3, ttmp7, s4
	s_wait_kmcnt 0x0
	v_mad_u32 v10, s3, s2, v1
	s_mov_b32 s2, exec_lo
	v_cmpx_gt_i64_e64 s[22:23], v[10:11]
	s_cbranch_execz .LBB4_43
; %bb.1:
	s_load_b64 s[2:3], s[0:1], 0x10
	s_wait_kmcnt 0x0
	v_lshl_add_u64 v[2:3], v[10:11], 3, s[2:3]
	global_load_b64 v[2:3], v[2:3], off
	s_wait_loadcnt 0x0
	v_cmp_ne_u64_e32 vcc_lo, 0, v[2:3]
	s_and_b32 exec_lo, exec_lo, vcc_lo
	s_cbranch_execz .LBB4_43
; %bb.2:
	s_clause 0x1
	s_load_b64 s[2:3], s[0:1], 0x28
	s_load_b64 s[4:5], s[0:1], 0x68
	v_lshlrev_b64_e32 v[4:5], 3, v[10:11]
	s_mov_b32 s29, 0
	s_wait_kmcnt 0x0
	s_delay_alu instid0(VALU_DEP_1)
	v_add_nc_u64_e32 v[6:7], s[2:3], v[4:5]
	v_add_nc_u64_e32 v[4:5], s[4:5], v[4:5]
	s_load_b256 s[4:11], s[0:1], 0x30
	s_add_nc_u64 s[2:3], s[0:1], 0x88
	global_load_b64 v[16:17], v[6:7], off
	global_load_b64 v[12:13], v[4:5], off
	s_load_b32 s12, s[2:3], 0xc
	s_wait_kmcnt 0x0
	s_lshl_b64 s[22:23], s[4:5], 1
	s_delay_alu instid0(SALU_CYCLE_1)
	s_and_b64 s[2:3], s[22:23], 0xffffffff00000000
	s_and_b32 s28, s12, 0xffff
	s_cmp_lg_u64 s[2:3], 0
	s_cbranch_scc0 .LBB4_44
; %bb.3:
	s_add_nc_u64 s[2:3], s[28:29], 0
	s_mov_b32 s15, s29
	s_xor_b64 s[2:3], s[2:3], 0
	s_mov_b32 s19, s29
	s_cvt_f32_u32 s4, s2
	s_cvt_f32_u32 s5, s3
	s_sub_nc_u64 s[12:13], 0, s[2:3]
	s_delay_alu instid0(SALU_CYCLE_2) | instskip(NEXT) | instid1(SALU_CYCLE_3)
	s_fmamk_f32 s4, s5, 0x4f800000, s4
	v_s_rcp_f32 s4, s4
	s_delay_alu instid0(TRANS32_DEP_1) | instskip(NEXT) | instid1(SALU_CYCLE_3)
	s_mul_f32 s4, s4, 0x5f7ffffc
	s_mul_f32 s5, s4, 0x2f800000
	s_delay_alu instid0(SALU_CYCLE_3) | instskip(NEXT) | instid1(SALU_CYCLE_3)
	s_trunc_f32 s5, s5
	s_fmamk_f32 s4, s5, 0xcf800000, s4
	s_cvt_u32_f32 s5, s5
	s_delay_alu instid0(SALU_CYCLE_2) | instskip(NEXT) | instid1(SALU_CYCLE_3)
	s_cvt_u32_f32 s4, s4
	s_mul_u64 s[16:17], s[12:13], s[4:5]
	s_delay_alu instid0(SALU_CYCLE_1)
	s_mul_hi_u32 s25, s4, s17
	s_mul_i32 s24, s4, s17
	s_mul_hi_u32 s14, s4, s16
	s_mul_i32 s26, s5, s16
	s_add_nc_u64 s[14:15], s[14:15], s[24:25]
	s_mul_hi_u32 s18, s5, s16
	s_mul_hi_u32 s27, s5, s17
	s_add_co_u32 s14, s14, s26
	s_add_co_ci_u32 s18, s15, s18
	s_mul_i32 s16, s5, s17
	s_add_co_ci_u32 s17, s27, 0
	s_delay_alu instid0(SALU_CYCLE_1) | instskip(SKIP_3) | instid1(SALU_CYCLE_1)
	s_add_nc_u64 s[14:15], s[18:19], s[16:17]
	s_mov_b32 s17, s29
	s_add_co_u32 s4, s4, s14
	s_cselect_b32 s14, -1, 0
	s_cmp_lg_u32 s14, 0
	s_add_co_ci_u32 s5, s5, s15
	s_mov_b32 s15, s29
	s_mul_u64 s[12:13], s[12:13], s[4:5]
	s_delay_alu instid0(SALU_CYCLE_1)
	s_mul_hi_u32 s19, s4, s13
	s_mul_i32 s18, s4, s13
	s_mul_hi_u32 s14, s4, s12
	s_mul_i32 s24, s5, s12
	s_add_nc_u64 s[14:15], s[14:15], s[18:19]
	s_mul_hi_u32 s16, s5, s12
	s_mul_hi_u32 s25, s5, s13
	s_mul_i32 s12, s5, s13
	s_add_co_u32 s13, s14, s24
	s_add_co_ci_u32 s16, s15, s16
	s_add_co_ci_u32 s13, s25, 0
	s_mov_b32 s15, s29
	s_add_nc_u64 s[12:13], s[16:17], s[12:13]
	s_delay_alu instid0(SALU_CYCLE_1) | instskip(SKIP_1) | instid1(SALU_CYCLE_1)
	s_add_co_u32 s16, s4, s12
	s_cselect_b32 s4, -1, 0
	s_cmp_lg_u32 s4, 0
	s_add_co_ci_u32 s24, s5, s13
	s_ashr_i32 s4, s23, 31
	s_delay_alu instid0(SALU_CYCLE_1) | instskip(NEXT) | instid1(SALU_CYCLE_1)
	s_mov_b32 s5, s4
	s_add_nc_u64 s[12:13], s[22:23], s[4:5]
	s_delay_alu instid0(SALU_CYCLE_1) | instskip(NEXT) | instid1(SALU_CYCLE_1)
	s_xor_b64 s[12:13], s[12:13], s[4:5]
	s_mul_hi_u32 s19, s12, s24
	s_mul_i32 s18, s12, s24
	s_mul_hi_u32 s14, s12, s16
	s_mul_hi_u32 s26, s13, s16
	s_mul_i32 s16, s13, s16
	s_add_nc_u64 s[14:15], s[14:15], s[18:19]
	s_mul_hi_u32 s25, s13, s24
	s_add_co_u32 s14, s14, s16
	s_add_co_ci_u32 s16, s15, s26
	s_mul_i32 s18, s13, s24
	s_add_co_ci_u32 s19, s25, 0
	s_delay_alu instid0(SALU_CYCLE_1) | instskip(NEXT) | instid1(SALU_CYCLE_1)
	s_add_nc_u64 s[14:15], s[16:17], s[18:19]
	s_and_b64 s[16:17], s[14:15], 0xffffffff00000000
	s_delay_alu instid0(SALU_CYCLE_1) | instskip(NEXT) | instid1(SALU_CYCLE_1)
	s_or_b32 s16, s16, s14
	s_mul_u64 s[14:15], s[2:3], s[16:17]
	s_delay_alu instid0(SALU_CYCLE_1)
	s_sub_co_u32 s12, s12, s14
	s_cselect_b32 s14, -1, 0
	s_sub_co_i32 s16, s13, s15
	s_cmp_lg_u32 s14, 0
	s_sub_co_ci_u32 s16, s16, s3
	s_sub_co_u32 s17, s12, s2
	s_cselect_b32 s18, -1, 0
	s_delay_alu instid0(SALU_CYCLE_1) | instskip(SKIP_1) | instid1(SALU_CYCLE_1)
	s_cmp_lg_u32 s18, 0
	s_sub_co_ci_u32 s19, s16, 0
	s_cmp_ge_u32 s19, s3
	s_cselect_b32 s24, -1, 0
	s_cmp_ge_u32 s17, s2
	s_cselect_b32 s25, -1, 0
	s_cmp_eq_u32 s19, s3
	s_cselect_b32 s24, s25, s24
	s_cmp_lg_u32 s18, 0
	s_sub_co_ci_u32 s16, s16, s3
	s_sub_co_u32 s18, s17, s2
	s_cselect_b32 s25, -1, 0
	s_delay_alu instid0(SALU_CYCLE_1)
	s_cmp_lg_u32 s25, 0
	s_sub_co_ci_u32 s16, s16, 0
	s_cmp_lg_u32 s24, 0
	s_cselect_b32 s17, s18, s17
	s_cselect_b32 s16, s16, s19
	s_cmp_lg_u32 s14, 0
	s_sub_co_ci_u32 s13, s13, s15
	s_delay_alu instid0(SALU_CYCLE_1)
	s_cmp_ge_u32 s13, s3
	s_cselect_b32 s14, -1, 0
	s_cmp_ge_u32 s12, s2
	s_cselect_b32 s2, -1, 0
	s_cmp_eq_u32 s13, s3
	s_cselect_b32 s2, s2, s14
	s_delay_alu instid0(SALU_CYCLE_1) | instskip(SKIP_2) | instid1(SALU_CYCLE_1)
	s_cmp_lg_u32 s2, 0
	s_cselect_b32 s3, s16, s13
	s_cselect_b32 s2, s17, s12
	s_xor_b64 s[2:3], s[2:3], s[4:5]
	s_delay_alu instid0(SALU_CYCLE_1) | instskip(SKIP_1) | instid1(SALU_CYCLE_1)
	s_sub_nc_u64 s[2:3], s[2:3], s[4:5]
	s_mov_b32 s4, s29
	s_and_not1_b32 vcc_lo, exec_lo, s4
	s_cbranch_vccnz .LBB4_5
.LBB4_4:
	v_cvt_f32_u32_e32 v1, s28
	s_sub_co_i32 s3, 0, s28
	s_delay_alu instid0(VALU_DEP_1) | instskip(SKIP_1) | instid1(TRANS32_DEP_1)
	v_rcp_iflag_f32_e32 v1, v1
	v_nop
	v_mul_f32_e32 v1, 0x4f7ffffe, v1
	s_delay_alu instid0(VALU_DEP_1) | instskip(NEXT) | instid1(VALU_DEP_1)
	v_cvt_u32_f32_e32 v1, v1
	v_readfirstlane_b32 s2, v1
	s_mul_i32 s3, s3, s2
	s_delay_alu instid0(SALU_CYCLE_1) | instskip(NEXT) | instid1(SALU_CYCLE_1)
	s_mul_hi_u32 s3, s2, s3
	s_add_co_i32 s2, s2, s3
	s_delay_alu instid0(SALU_CYCLE_1) | instskip(NEXT) | instid1(SALU_CYCLE_1)
	s_mul_hi_u32 s2, s22, s2
	s_mul_i32 s2, s2, s28
	s_delay_alu instid0(SALU_CYCLE_1) | instskip(NEXT) | instid1(SALU_CYCLE_1)
	s_sub_co_i32 s2, s22, s2
	s_sub_co_i32 s3, s2, s28
	s_cmp_ge_u32 s2, s28
	s_cselect_b32 s2, s3, s2
	s_mov_b32 s3, 0
	s_sub_co_i32 s4, s2, s28
	s_cmp_ge_u32 s2, s28
	s_cselect_b32 s2, s4, s2
.LBB4_5:
	s_delay_alu instid0(SALU_CYCLE_1) | instskip(NEXT) | instid1(SALU_CYCLE_1)
	s_sub_nc_u64 s[30:31], s[22:23], s[2:3]
	v_cmp_lt_i64_e64 s4, s[30:31], 0
	s_and_b32 vcc_lo, exec_lo, s4
	s_cbranch_vccnz .LBB4_43
; %bb.6:
	s_load_b256 s[12:19], s[0:1], 0x50
	v_and_b32_e32 v0, 0x3ff, v0
	v_mov_b32_e32 v1, 0
	v_add_nc_u64_e32 v[6:7], -1, v[2:3]
	v_mul_u64_e32 v[22:23], s[8:9], v[10:11]
	s_load_b128 s[24:27], s[0:1], 0x0
	s_delay_alu instid0(VALU_DEP_3) | instskip(NEXT) | instid1(VALU_DEP_3)
	v_add_nc_u64_e32 v[4:5], s[22:23], v[0:1]
	v_mul_u64_e32 v[28:29], s[6:7], v[6:7]
	s_delay_alu instid0(VALU_DEP_2) | instskip(SKIP_4) | instid1(VALU_DEP_3)
	v_sub_nc_u64_e64 v[14:15], v[4:5], s[2:3]
	s_wait_loadcnt 0x1
	v_lshlrev_b64_e32 v[4:5], 1, v[16:17]
	s_wait_kmcnt 0x0
	v_mul_u64_e32 v[24:25], s[12:13], v[10:11]
	v_mul_u64_e32 v[18:19], s[16:17], v[14:15]
	s_delay_alu instid0(VALU_DEP_3)
	v_add_nc_u64_e32 v[8:9], -1, v[4:5]
	v_mul_u64_e32 v[26:27], s[14:15], v[6:7]
	s_clause 0x1
	s_load_b64 s[2:3], s[0:1], 0x20
	s_load_b64 s[12:13], s[0:1], 0x80
	s_mul_u64 s[4:5], s[16:17], s[28:29]
	s_delay_alu instid0(VALU_DEP_2) | instskip(NEXT) | instid1(VALU_DEP_1)
	v_lshrrev_b64 v[10:11], 1, v[8:9]
	v_mul_u64_e32 v[32:33], s[20:21], v[10:11]
	s_wait_loadcnt 0x0
	s_wait_kmcnt 0x0
	v_lshl_add_u64 v[12:13], v[12:13], 3, s[2:3]
	s_mul_u64 s[2:3], s[12:13], s[10:11]
	v_lshlrev_b64_e32 v[10:11], 3, v[24:25]
	v_lshlrev_b64_e32 v[20:21], 3, v[18:19]
	v_sub_nc_u64_e32 v[18:19], v[4:5], v[0:1]
	s_delay_alu instid0(VALU_DEP_2) | instskip(SKIP_1) | instid1(VALU_DEP_2)
	v_lshl_add_u64 v[24:25], v[26:27], 3, v[20:21]
	v_lshl_add_u64 v[26:27], v[22:23], 3, s[26:27]
	v_add_nc_u64_e32 v[30:31], v[24:25], v[10:11]
	s_delay_alu instid0(VALU_DEP_2) | instskip(SKIP_1) | instid1(VALU_DEP_2)
	v_lshl_add_u64 v[24:25], v[28:29], 3, v[26:27]
	v_lshl_add_u64 v[32:33], v[32:33], 3, v[12:13]
	;; [unrolled: 1-line block ×3, first 2 shown]
	s_delay_alu instid0(VALU_DEP_4) | instskip(SKIP_2) | instid1(SALU_CYCLE_1)
	v_add_nc_u64_e32 v[28:29], s[24:25], v[30:31]
	v_add_nc_u64_e32 v[30:31], -1, v[18:19]
	s_lshl_b64 s[2:3], s[4:5], 3
	s_sub_nc_u64 s[18:19], 0, s[2:3]
	s_mov_b64 s[2:3], s[30:31]
	s_branch .LBB4_8
.LBB4_7:                                ;   in Loop: Header=BB4_8 Depth=1
	s_wait_xcnt 0x0
	s_or_b32 exec_lo, exec_lo, s4
	s_sub_nc_u64 s[2:3], s[2:3], s[28:29]
	v_add_nc_u64_e32 v[28:29], s[18:19], v[28:29]
	v_cmp_lt_i64_e64 s4, s[2:3], 0
	s_and_b32 vcc_lo, exec_lo, s4
	s_cbranch_vccnz .LBB4_16
.LBB4_8:                                ; =>This Inner Loop Header: Depth=1
	s_mov_b32 s4, exec_lo
                                        ; implicit-def: $vgpr34_vgpr35
	v_cmpx_ne_u64_e64 s[2:3], v[18:19]
	s_xor_b32 s4, exec_lo, s4
	s_cbranch_execz .LBB4_12
; %bb.9:                                ;   in Loop: Header=BB4_8 Depth=1
	s_wait_loadcnt 0x0
	v_mov_b64_e32 v[34:35], 0xfff0000000000000
	s_mov_b32 s5, exec_lo
	v_cmpx_eq_u64_e64 s[2:3], v[30:31]
	s_cbranch_execz .LBB4_11
; %bb.10:                               ;   in Loop: Header=BB4_8 Depth=1
	global_load_b64 v[34:35], v[32:33], off
	s_wait_loadcnt 0x0
	v_mul_u64_e32 v[34:35], s[10:11], v[34:35]
	s_delay_alu instid0(VALU_DEP_1)
	v_lshl_add_u64 v[34:35], v[34:35], 3, v[24:25]
	global_load_b64 v[34:35], v[34:35], off
.LBB4_11:                               ;   in Loop: Header=BB4_8 Depth=1
	s_wait_xcnt 0x0
	s_or_b32 exec_lo, exec_lo, s5
.LBB4_12:                               ;   in Loop: Header=BB4_8 Depth=1
	s_and_not1_saveexec_b32 s4, s4
	s_cbranch_execz .LBB4_14
; %bb.13:                               ;   in Loop: Header=BB4_8 Depth=1
	s_wait_loadcnt 0x0
	global_load_b64 v[34:35], v[26:27], off
.LBB4_14:                               ;   in Loop: Header=BB4_8 Depth=1
	s_wait_xcnt 0x0
	s_or_b32 exec_lo, exec_lo, s4
	v_add_nc_u64_e32 v[36:37], s[2:3], v[0:1]
	s_mov_b32 s4, exec_lo
	s_delay_alu instid0(VALU_DEP_1)
	v_cmpx_ge_i64_e64 s[22:23], v[36:37]
	s_cbranch_execz .LBB4_7
; %bb.15:                               ;   in Loop: Header=BB4_8 Depth=1
	s_wait_loadcnt 0x0
	global_store_b64 v[28:29], v[34:35], off
	s_branch .LBB4_7
.LBB4_16:
	s_load_b64 s[2:3], s[0:1], 0x18
	v_add_nc_u64_e32 v[18:19], 2, v[14:15]
	v_lshl_add_u64 v[26:27], v[14:15], 3, 8
	s_lshl_b64 s[8:9], s[14:15], 3
	s_lshl_b64 s[10:11], s[10:11], 3
	s_sub_nc_u64 s[34:35], 0, s[8:9]
                                        ; implicit-def: $vgpr28_vgpr29
                                        ; implicit-def: $vgpr28_vgpr29
	;; [unrolled: 1-line block ×13, first 2 shown]
	s_delay_alu instid0(VALU_DEP_2)
	v_mul_u64_e32 v[24:25], s[16:17], v[18:19]
	s_wait_kmcnt 0x0
	s_add_nc_u64 s[0:1], s[2:3], -1
	s_add_nc_u64 s[36:37], s[2:3], -2
	s_mul_u64 s[0:1], s[14:15], s[0:1]
	s_mul_u64 s[8:9], s[14:15], s[36:37]
	s_lshl_b64 s[0:1], s[0:1], 3
	s_mul_u64 s[14:15], s[6:7], s[36:37]
	s_add_nc_u64 s[4:5], s[24:25], s[0:1]
	s_lshl_b64 s[8:9], s[8:9], 3
	v_mad_nc_u64_u32 v[14:15], s16, v26, s[4:5]
	s_lshl_b64 s[14:15], s[14:15], 3
	s_add_nc_u64 s[8:9], s[24:25], s[8:9]
	v_cmp_lt_i64_e64 s0, 0, v[16:17]
	v_cmp_ne_u64_e64 s1, 0, v[16:17]
	v_mov_b64_e32 v[16:17], 0x3e928af3fca7ab0c
	s_add_nc_u64 s[14:15], s[26:27], s[14:15]
	v_add_nc_u64_e32 v[18:19], s[8:9], v[20:21]
	v_add_nc_u64_e32 v[20:21], s[4:5], v[20:21]
	v_cmp_gt_i64_e64 s9, s[2:3], 1
	v_lshl_add_u64 v[22:23], v[22:23], 3, s[14:15]
	v_mad_u32 v15, s17, v26, v15
	v_lshl_add_u64 v[24:25], v[24:25], 3, s[4:5]
	s_lshl_b64 s[2:3], s[6:7], 3
	s_mov_b64 s[14:15], 0x3fe5555555555555
	s_sub_nc_u64 s[24:25], 0, s[2:3]
	s_delay_alu instid0(VALU_DEP_2)
	v_mad_u32 v15, s16, v27, v15
	v_mov_b64_e32 v[26:27], 0x3fc385386b47b09a
	s_mov_b64 s[16:17], 0x3fe62e42fefa39ef
	s_branch .LBB4_18
.LBB4_17:                               ;   in Loop: Header=BB4_18 Depth=1
	s_sub_nc_u64 s[30:31], s[30:31], s[28:29]
	v_add_nc_u64_e32 v[18:19], s[18:19], v[18:19]
	v_cmp_lt_i64_e64 s2, s[30:31], 0
	v_add_nc_u64_e32 v[14:15], s[18:19], v[14:15]
	v_add_nc_u64_e32 v[20:21], s[18:19], v[20:21]
	;; [unrolled: 1-line block ×3, first 2 shown]
	s_and_b32 vcc_lo, exec_lo, s2
	s_cbranch_vccnz .LBB4_43
.LBB4_18:                               ; =>This Loop Header: Depth=1
                                        ;     Child Loop BB4_29 Depth 2
	v_add_nc_u64_e32 v[30:31], s[30:31], v[0:1]
	s_wait_loadcnt 0x0
	v_mov_b64_e32 v[32:33], s[12:13]
	s_mov_b32 s33, 0
	s_delay_alu instid0(VALU_DEP_2) | instskip(SKIP_1) | instid1(SALU_CYCLE_1)
	v_cmp_le_i64_e64 s3, v[30:31], v[4:5]
	s_and_b32 s2, s0, s3
	s_and_saveexec_b32 s4, s2
	s_cbranch_execz .LBB4_26
; %bb.19:                               ;   in Loop: Header=BB4_18 Depth=1
	v_and_b32_e32 v28, 1, v30
	v_mov_b64_e32 v[32:33], s[12:13]
	s_delay_alu instid0(VALU_DEP_2)
	v_cmp_eq_u32_e32 vcc_lo, 1, v28
	s_and_saveexec_b32 s2, vcc_lo
	s_cbranch_execz .LBB4_21
; %bb.20:                               ;   in Loop: Header=BB4_18 Depth=1
	v_lshrrev_b64 v[28:29], 1, v[30:31]
	s_delay_alu instid0(VALU_DEP_1) | instskip(NEXT) | instid1(VALU_DEP_1)
	v_mul_u64_e32 v[28:29], s[20:21], v[28:29]
	v_lshl_add_u64 v[28:29], v[28:29], 3, v[12:13]
	global_load_b64 v[32:33], v[28:29], off
.LBB4_21:                               ;   in Loop: Header=BB4_18 Depth=1
	s_wait_xcnt 0x0
	s_or_b32 exec_lo, exec_lo, s2
	s_mov_b32 s6, 0
	s_mov_b32 s5, exec_lo
	v_cmpx_lt_i64_e64 v[30:31], v[8:9]
	s_cbranch_execz .LBB4_25
; %bb.22:                               ;   in Loop: Header=BB4_18 Depth=1
	v_mov_b64_e32 v[28:29], s[12:13]
	s_and_saveexec_b32 s2, vcc_lo
	s_cbranch_execz .LBB4_24
; %bb.23:                               ;   in Loop: Header=BB4_18 Depth=1
	v_add_nc_u64_e32 v[28:29], 2, v[30:31]
	s_delay_alu instid0(VALU_DEP_1) | instskip(NEXT) | instid1(VALU_DEP_1)
	v_lshrrev_b64 v[28:29], 1, v[28:29]
	v_mul_u64_e32 v[28:29], s[20:21], v[28:29]
	s_delay_alu instid0(VALU_DEP_1)
	v_lshl_add_u64 v[28:29], v[28:29], 3, v[12:13]
	global_load_b64 v[28:29], v[28:29], off
.LBB4_24:                               ;   in Loop: Header=BB4_18 Depth=1
	s_wait_xcnt 0x0
	s_or_b32 exec_lo, exec_lo, s2
	s_wait_loadcnt 0x0
	s_delay_alu instid0(VALU_DEP_1)
	v_cmp_ne_u64_e32 vcc_lo, v[28:29], v[32:33]
	s_and_b32 s6, vcc_lo, exec_lo
.LBB4_25:                               ;   in Loop: Header=BB4_18 Depth=1
	s_or_b32 exec_lo, exec_lo, s5
	s_delay_alu instid0(SALU_CYCLE_1)
	s_and_b32 s33, s6, exec_lo
.LBB4_26:                               ;   in Loop: Header=BB4_18 Depth=1
	s_or_b32 exec_lo, exec_lo, s4
	s_delay_alu instid0(SALU_CYCLE_1)
	s_and_not1_b32 vcc_lo, exec_lo, s9
	s_cbranch_vccnz .LBB4_17
; %bb.27:                               ;   in Loop: Header=BB4_18 Depth=1
	s_wait_loadcnt 0x0
	v_mad_nc_u64_u32 v[28:29], s10, v32, v[22:23]
	v_cmp_gt_i64_e64 s2, 1, v[30:31]
	v_cmp_lt_i64_e32 vcc_lo, s[22:23], v[30:31]
	v_mov_b64_e32 v[34:35], v[14:15]
	v_mov_b64_e32 v[36:37], v[18:19]
	s_xor_b32 s39, s3, -1
	s_mov_b64 s[26:27], s[36:37]
	s_or_b32 s4, s1, s2
	v_cmp_lt_i64_e64 s2, v[30:31], v[4:5]
	v_mov_b64_e32 v[30:31], v[24:25]
	v_mad_u32 v29, s11, v32, v29
	s_and_b32 s38, s4, s3
	s_delay_alu instid0(VALU_DEP_1)
	v_mad_u32 v29, s10, v33, v29
	v_mov_b64_e32 v[32:33], v[20:21]
	s_branch .LBB4_29
.LBB4_28:                               ;   in Loop: Header=BB4_29 Depth=2
	s_wait_xcnt 0x0
	s_or_b32 exec_lo, exec_lo, s3
	v_add_nc_u64_e32 v[36:37], s[34:35], v[36:37]
	v_add_nc_u64_e32 v[34:35], s[34:35], v[34:35]
	;; [unrolled: 1-line block ×5, first 2 shown]
	s_add_nc_u64 s[26:27], s[26:27], -1
	s_delay_alu instid0(SALU_CYCLE_1)
	s_cmp_eq_u64 s[26:27], -1
	s_cbranch_scc1 .LBB4_17
.LBB4_29:                               ;   Parent Loop BB4_18 Depth=1
                                        ; =>  This Inner Loop Header: Depth=2
	v_cmp_ge_i64_e64 s3, s[26:27], v[6:7]
	s_mov_b32 s40, 0
	s_wait_storecnt 0x0
	s_barrier_signal -1
	s_barrier_wait -1
	s_or_b32 s3, s39, s3
	s_delay_alu instid0(SALU_CYCLE_1) | instskip(NEXT) | instid1(SALU_CYCLE_1)
	s_and_saveexec_b32 s4, s3
	s_xor_b32 s4, exec_lo, s4
	s_cbranch_execnz .LBB4_32
; %bb.30:                               ;   in Loop: Header=BB4_29 Depth=2
	s_or_saveexec_b32 s41, s4
	v_mov_b64_e32 v[38:39], 0xfff0000000000000
	s_xor_b32 exec_lo, exec_lo, s41
	s_cbranch_execnz .LBB4_33
.LBB4_31:                               ;   in Loop: Header=BB4_29 Depth=2
	s_or_b32 exec_lo, exec_lo, s41
	s_and_saveexec_b32 s3, s40
	s_cbranch_execz .LBB4_28
	s_branch .LBB4_42
.LBB4_32:                               ;   in Loop: Header=BB4_29 Depth=2
	v_cmp_lt_i64_e64 s3, s[26:27], v[2:3]
	s_and_b32 s3, s3, s38
	s_delay_alu instid0(SALU_CYCLE_1) | instskip(NEXT) | instid1(SALU_CYCLE_1)
	s_nor_b32 s3, vcc_lo, s3
	s_and_b32 s40, s3, exec_lo
	s_or_saveexec_b32 s41, s4
	v_mov_b64_e32 v[38:39], 0xfff0000000000000
	s_xor_b32 exec_lo, exec_lo, s41
	s_cbranch_execz .LBB4_31
.LBB4_33:                               ;   in Loop: Header=BB4_29 Depth=2
	v_add_nc_u64_e32 v[38:39], v[32:33], v[10:11]
	v_mov_b64_e32 v[40:41], 0xfff0000000000000
	v_mov_b64_e32 v[42:43], 0xfff0000000000000
	global_load_b64 v[44:45], v[38:39], off
	s_wait_loadcnt 0x0
	v_mov_b64_e32 v[38:39], v[44:45]
	s_and_saveexec_b32 s4, s2
	s_cbranch_execz .LBB4_37
; %bb.34:                               ;   in Loop: Header=BB4_29 Depth=2
	v_add_nc_u64_e32 v[38:39], v[34:35], v[10:11]
	s_mov_b32 s5, exec_lo
	global_load_b64 v[42:43], v[38:39], off
	s_wait_xcnt 0x0
	v_mov_b64_e32 v[38:39], v[44:45]
	s_wait_loadcnt 0x0
	v_cmpx_gt_f64_e32 v[42:43], v[44:45]
; %bb.35:                               ;   in Loop: Header=BB4_29 Depth=2
	v_mov_b64_e32 v[38:39], v[42:43]
; %bb.36:                               ;   in Loop: Header=BB4_29 Depth=2
	s_or_b32 exec_lo, exec_lo, s5
.LBB4_37:                               ;   in Loop: Header=BB4_29 Depth=2
	s_delay_alu instid0(SALU_CYCLE_1)
	s_or_b32 exec_lo, exec_lo, s4
	s_and_saveexec_b32 s4, s33
	s_cbranch_execz .LBB4_41
; %bb.38:                               ;   in Loop: Header=BB4_29 Depth=2
	v_add_nc_u64_e32 v[40:41], v[30:31], v[10:11]
	s_mov_b32 s5, exec_lo
	global_load_b64 v[40:41], v[40:41], off
	s_wait_loadcnt 0x0
	v_cmpx_gt_f64_e32 v[40:41], v[38:39]
; %bb.39:                               ;   in Loop: Header=BB4_29 Depth=2
	v_mov_b64_e32 v[38:39], v[40:41]
; %bb.40:                               ;   in Loop: Header=BB4_29 Depth=2
	s_or_b32 exec_lo, exec_lo, s5
.LBB4_41:                               ;   in Loop: Header=BB4_29 Depth=2
	s_delay_alu instid0(SALU_CYCLE_1) | instskip(NEXT) | instid1(VALU_DEP_1)
	s_or_b32 exec_lo, exec_lo, s4
	v_cmp_neq_f64_e64 s3, 0xfff00000, v[38:39]
	s_or_b32 s40, s40, exec_lo
	v_dual_cndmask_b32 v39, 0, v39, s3 :: v_dual_cndmask_b32 v38, 0, v38, s3
	s_delay_alu instid0(VALU_DEP_1) | instskip(SKIP_1) | instid1(VALU_DEP_2)
	v_add_f64_e64 v[44:45], v[44:45], -v[38:39]
	v_add_f64_e64 v[42:43], v[42:43], -v[38:39]
	v_mul_f64_e32 v[46:47], 0x3ff71547652b82fe, v[44:45]
	s_delay_alu instid0(VALU_DEP_2)
	v_mul_f64_e32 v[48:49], 0x3ff71547652b82fe, v[42:43]
	v_cmp_nlt_f64_e64 s5, 0x40900000, v[42:43]
	v_cmp_nlt_f64_e64 s3, 0x40900000, v[44:45]
	v_cmp_ngt_f64_e64 s4, 0xc090cc00, v[44:45]
	v_cmp_ngt_f64_e64 s6, 0xc090cc00, v[42:43]
	v_rndne_f64_e32 v[46:47], v[46:47]
	v_rndne_f64_e32 v[48:49], v[48:49]
	s_delay_alu instid0(VALU_DEP_2) | instskip(NEXT) | instid1(VALU_DEP_2)
	v_fmamk_f64 v[52:53], v[46:47], 0xbfe62e42fefa39ef, v[44:45]
	v_fmamk_f64 v[54:55], v[48:49], 0xbfe62e42fefa39ef, v[42:43]
	v_cvt_i32_f64_e32 v64, v[46:47]
	s_delay_alu instid0(VALU_DEP_3) | instskip(NEXT) | instid1(VALU_DEP_3)
	v_fmac_f64_e32 v[52:53], 0xbc7abc9e3b39803f, v[46:47]
	v_fmac_f64_e32 v[54:55], 0xbc7abc9e3b39803f, v[48:49]
	s_delay_alu instid0(VALU_DEP_2) | instskip(NEXT) | instid1(VALU_DEP_2)
	v_fmamk_f64 v[58:59], v[52:53], 0x3e5ade156a5dcb37, v[16:17]
	v_fmamk_f64 v[60:61], v[54:55], 0x3e5ade156a5dcb37, v[16:17]
	s_delay_alu instid0(VALU_DEP_2) | instskip(NEXT) | instid1(VALU_DEP_2)
	v_fmaak_f64 v[58:59], v[52:53], v[58:59], 0x3ec71dee623fde64
	v_fmaak_f64 v[60:61], v[54:55], v[60:61], 0x3ec71dee623fde64
	s_delay_alu instid0(VALU_DEP_2) | instskip(NEXT) | instid1(VALU_DEP_2)
	v_fmaak_f64 v[58:59], v[52:53], v[58:59], 0x3efa01997c89e6b0
	v_fmaak_f64 v[60:61], v[54:55], v[60:61], 0x3efa01997c89e6b0
	;; [unrolled: 3-line block ×8, first 2 shown]
	s_delay_alu instid0(VALU_DEP_2) | instskip(NEXT) | instid1(VALU_DEP_2)
	v_fma_f64 v[58:59], v[52:53], v[58:59], 1.0
	v_fma_f64 v[60:61], v[54:55], v[60:61], 1.0
	s_delay_alu instid0(VALU_DEP_2) | instskip(SKIP_1) | instid1(VALU_DEP_3)
	v_fma_f64 v[46:47], v[52:53], v[58:59], 1.0
	v_cvt_i32_f64_e32 v52, v[48:49]
	v_fma_f64 v[48:49], v[54:55], v[60:61], 1.0
	global_load_b64 v[60:61], v[28:29], off
	v_ldexp_f64 v[46:47], v[46:47], v64
	v_ldexp_f64 v[48:49], v[48:49], v52
	s_delay_alu instid0(VALU_DEP_2) | instskip(SKIP_1) | instid1(VALU_DEP_2)
	v_cndmask_b32_e64 v47, 0x7ff00000, v47, s3
	s_and_b32 s3, s4, s3
	v_cndmask_b32_e64 v44, 0x7ff00000, v49, s5
	s_delay_alu instid0(VALU_DEP_1) | instskip(NEXT) | instid1(VALU_DEP_1)
	v_dual_add_f64 v[40:41], v[40:41], -v[38:39] :: v_dual_cndmask_b32 v43, 0, v44, s6
	v_mul_f64_e32 v[50:51], 0x3ff71547652b82fe, v[40:41]
	v_cmp_nlt_f64_e64 s7, 0x40900000, v[40:41]
	v_cmp_ngt_f64_e64 s8, 0xc090cc00, v[40:41]
	s_delay_alu instid0(VALU_DEP_3) | instskip(NEXT) | instid1(VALU_DEP_1)
	v_rndne_f64_e32 v[50:51], v[50:51]
	v_fmamk_f64 v[56:57], v[50:51], 0xbfe62e42fefa39ef, v[40:41]
	v_cvt_i32_f64_e32 v53, v[50:51]
	v_dual_cndmask_b32 v41, 0, v47, s4 :: v_dual_cndmask_b32 v40, 0, v46, s3
	s_and_b32 s3, s6, s5
	s_delay_alu instid0(SALU_CYCLE_1) | instskip(NEXT) | instid1(VALU_DEP_4)
	v_cndmask_b32_e64 v42, 0, v48, s3
	v_fmac_f64_e32 v[56:57], 0xbc7abc9e3b39803f, v[50:51]
	s_and_b32 s3, s8, s7
	s_delay_alu instid0(VALU_DEP_1) | instskip(NEXT) | instid1(VALU_DEP_1)
	v_fmamk_f64 v[62:63], v[56:57], 0x3e5ade156a5dcb37, v[16:17]
	v_fmaak_f64 v[62:63], v[56:57], v[62:63], 0x3ec71dee623fde64
	s_delay_alu instid0(VALU_DEP_1) | instskip(NEXT) | instid1(VALU_DEP_1)
	v_fmaak_f64 v[62:63], v[56:57], v[62:63], 0x3efa01997c89e6b0
	v_fmaak_f64 v[62:63], v[56:57], v[62:63], 0x3f2a01a014761f6e
	s_delay_alu instid0(VALU_DEP_1) | instskip(NEXT) | instid1(VALU_DEP_1)
	v_fmaak_f64 v[62:63], v[56:57], v[62:63], 0x3f56c16c1852b7b0
	;; [unrolled: 3-line block ×4, first 2 shown]
	v_fma_f64 v[62:63], v[56:57], v[62:63], 1.0
	s_delay_alu instid0(VALU_DEP_1) | instskip(NEXT) | instid1(VALU_DEP_1)
	v_fma_f64 v[50:51], v[56:57], v[62:63], 1.0
	v_ldexp_f64 v[50:51], v[50:51], v53
	s_delay_alu instid0(VALU_DEP_1) | instskip(SKIP_1) | instid1(VALU_DEP_2)
	v_cndmask_b32_e64 v45, 0x7ff00000, v51, s7
	v_add_f64_e32 v[40:41], v[40:41], v[42:43]
	v_dual_cndmask_b32 v42, 0, v50, s3 :: v_dual_cndmask_b32 v43, 0, v45, s8
	s_delay_alu instid0(VALU_DEP_1) | instskip(NEXT) | instid1(VALU_DEP_1)
	v_add_f64_e32 v[40:41], v[42:43], v[40:41]
	v_frexp_mant_f64_e32 v[42:43], v[40:41]
	s_delay_alu instid0(VALU_DEP_1) | instskip(NEXT) | instid1(VALU_DEP_1)
	v_cmp_gt_f64_e64 s3, s[14:15], v[42:43]
	v_cndmask_b32_e64 v44, 0, 1, s3
	s_delay_alu instid0(VALU_DEP_1) | instskip(NEXT) | instid1(VALU_DEP_1)
	v_ldexp_f64 v[42:43], v[42:43], v44
	v_add_f64_e32 v[44:45], 1.0, v[42:43]
	v_add_f64_e32 v[50:51], -1.0, v[42:43]
	s_delay_alu instid0(VALU_DEP_2) | instskip(SKIP_1) | instid1(VALU_DEP_1)
	v_rcp_f64_e32 v[46:47], v[44:45]
	v_add_f64_e32 v[52:53], -1.0, v[44:45]
	v_add_f64_e64 v[42:43], v[42:43], -v[52:53]
	s_delay_alu instid0(TRANS32_DEP_1) | instskip(NEXT) | instid1(VALU_DEP_1)
	v_fma_f64 v[48:49], -v[44:45], v[46:47], 1.0
	v_fmac_f64_e32 v[46:47], v[48:49], v[46:47]
	s_delay_alu instid0(VALU_DEP_1) | instskip(NEXT) | instid1(VALU_DEP_1)
	v_fma_f64 v[48:49], -v[44:45], v[46:47], 1.0
	v_fmac_f64_e32 v[46:47], v[48:49], v[46:47]
	s_delay_alu instid0(VALU_DEP_1) | instskip(NEXT) | instid1(VALU_DEP_1)
	v_mul_f64_e32 v[48:49], v[50:51], v[46:47]
	v_mul_f64_e32 v[54:55], v[44:45], v[48:49]
	s_delay_alu instid0(VALU_DEP_1) | instskip(NEXT) | instid1(VALU_DEP_1)
	v_fma_f64 v[44:45], v[48:49], v[44:45], -v[54:55]
	v_fmac_f64_e32 v[44:45], v[48:49], v[42:43]
	s_delay_alu instid0(VALU_DEP_1) | instskip(NEXT) | instid1(VALU_DEP_1)
	v_add_f64_e32 v[42:43], v[54:55], v[44:45]
	v_add_f64_e64 v[52:53], v[50:51], -v[42:43]
	v_add_f64_e64 v[54:55], v[42:43], -v[54:55]
	s_delay_alu instid0(VALU_DEP_2) | instskip(NEXT) | instid1(VALU_DEP_2)
	v_add_f64_e64 v[50:51], v[50:51], -v[52:53]
	v_add_f64_e64 v[44:45], v[54:55], -v[44:45]
	v_frexp_exp_i32_f64_e32 v54, v[40:41]
	s_delay_alu instid0(VALU_DEP_3) | instskip(NEXT) | instid1(VALU_DEP_1)
	v_add_f64_e64 v[42:43], v[50:51], -v[42:43]
	v_add_f64_e32 v[42:43], v[44:45], v[42:43]
	s_delay_alu instid0(VALU_DEP_1) | instskip(NEXT) | instid1(VALU_DEP_1)
	v_add_f64_e32 v[42:43], v[52:53], v[42:43]
	v_mul_f64_e32 v[42:43], v[46:47], v[42:43]
	s_delay_alu instid0(VALU_DEP_1) | instskip(NEXT) | instid1(VALU_DEP_1)
	v_add_f64_e32 v[44:45], v[48:49], v[42:43]
	v_mul_f64_e32 v[46:47], v[44:45], v[44:45]
	s_delay_alu instid0(VALU_DEP_1) | instskip(SKIP_1) | instid1(VALU_DEP_2)
	v_fmamk_f64 v[50:51], v[46:47], 0x3fc3ab76bf559e2b, v[26:27]
	v_mul_f64_e32 v[52:53], v[44:45], v[46:47]
	v_fmaak_f64 v[50:51], v[46:47], v[50:51], 0x3fc7474dd7f4df2e
	s_delay_alu instid0(VALU_DEP_1) | instskip(NEXT) | instid1(VALU_DEP_1)
	v_fmaak_f64 v[50:51], v[46:47], v[50:51], 0x3fcc71c016291751
	v_fmaak_f64 v[50:51], v[46:47], v[50:51], 0x3fd249249b27acf1
	s_delay_alu instid0(VALU_DEP_1) | instskip(NEXT) | instid1(VALU_DEP_1)
	v_fmaak_f64 v[50:51], v[46:47], v[50:51], 0x3fd99999998ef7b6
	v_fmaak_f64 v[46:47], v[46:47], v[50:51], 0x3fe5555555555780
	v_ldexp_f64 v[50:51], v[44:45], 1
	v_add_f64_e64 v[44:45], v[44:45], -v[48:49]
	s_delay_alu instid0(VALU_DEP_3) | instskip(SKIP_2) | instid1(VALU_DEP_2)
	v_mul_f64_e32 v[46:47], v[52:53], v[46:47]
	v_subrev_co_ci_u32_e64 v52, null, 0, v54, s3
	v_cmp_class_f64_e64 s3, v[40:41], 0x204
	v_cvt_f64_i32_e32 v[52:53], v52
	v_add_f64_e64 v[42:43], v[42:43], -v[44:45]
	v_add_f64_e32 v[48:49], v[50:51], v[46:47]
	s_delay_alu instid0(VALU_DEP_3) | instskip(NEXT) | instid1(VALU_DEP_3)
	v_mul_f64_e32 v[54:55], 0x3fe62e42fefa39ef, v[52:53]
	v_ldexp_f64 v[42:43], v[42:43], 1
	s_delay_alu instid0(VALU_DEP_3) | instskip(NEXT) | instid1(VALU_DEP_3)
	v_add_f64_e64 v[44:45], v[48:49], -v[50:51]
	v_fma_f64 v[50:51], v[52:53], s[16:17], -v[54:55]
	s_delay_alu instid0(VALU_DEP_2) | instskip(NEXT) | instid1(VALU_DEP_2)
	v_add_f64_e64 v[44:45], v[46:47], -v[44:45]
	v_fmac_f64_e32 v[50:51], 0x3c7abc9e3b39803f, v[52:53]
	s_delay_alu instid0(VALU_DEP_2) | instskip(NEXT) | instid1(VALU_DEP_2)
	v_add_f64_e32 v[42:43], v[42:43], v[44:45]
	v_add_f64_e32 v[44:45], v[54:55], v[50:51]
	s_delay_alu instid0(VALU_DEP_2) | instskip(NEXT) | instid1(VALU_DEP_2)
	v_add_f64_e32 v[46:47], v[48:49], v[42:43]
	v_add_f64_e64 v[54:55], v[44:45], -v[54:55]
	s_delay_alu instid0(VALU_DEP_2) | instskip(SKIP_1) | instid1(VALU_DEP_3)
	v_add_f64_e32 v[52:53], v[44:45], v[46:47]
	v_add_f64_e64 v[48:49], v[46:47], -v[48:49]
	v_add_f64_e64 v[50:51], v[50:51], -v[54:55]
	s_delay_alu instid0(VALU_DEP_3) | instskip(NEXT) | instid1(VALU_DEP_3)
	v_add_f64_e64 v[56:57], v[52:53], -v[44:45]
	v_add_f64_e64 v[42:43], v[42:43], -v[48:49]
	s_delay_alu instid0(VALU_DEP_2) | instskip(SKIP_1) | instid1(VALU_DEP_3)
	v_add_f64_e64 v[58:59], v[52:53], -v[56:57]
	v_add_f64_e64 v[46:47], v[46:47], -v[56:57]
	v_add_f64_e32 v[48:49], v[50:51], v[42:43]
	s_delay_alu instid0(VALU_DEP_3) | instskip(NEXT) | instid1(VALU_DEP_1)
	v_add_f64_e64 v[44:45], v[44:45], -v[58:59]
	v_add_f64_e32 v[44:45], v[46:47], v[44:45]
	s_delay_alu instid0(VALU_DEP_3) | instskip(NEXT) | instid1(VALU_DEP_2)
	v_add_f64_e64 v[46:47], v[48:49], -v[50:51]
	v_add_f64_e32 v[44:45], v[48:49], v[44:45]
	s_delay_alu instid0(VALU_DEP_2) | instskip(SKIP_1) | instid1(VALU_DEP_3)
	v_add_f64_e64 v[48:49], v[48:49], -v[46:47]
	v_add_f64_e64 v[42:43], v[42:43], -v[46:47]
	v_add_f64_e32 v[54:55], v[52:53], v[44:45]
	s_delay_alu instid0(VALU_DEP_3) | instskip(NEXT) | instid1(VALU_DEP_2)
	v_add_f64_e64 v[46:47], v[50:51], -v[48:49]
	v_add_f64_e64 v[48:49], v[54:55], -v[52:53]
	s_delay_alu instid0(VALU_DEP_2) | instskip(NEXT) | instid1(VALU_DEP_2)
	v_add_f64_e32 v[42:43], v[42:43], v[46:47]
	v_add_f64_e64 v[44:45], v[44:45], -v[48:49]
	s_delay_alu instid0(VALU_DEP_1) | instskip(NEXT) | instid1(VALU_DEP_1)
	v_add_f64_e32 v[42:43], v[42:43], v[44:45]
	v_add_f64_e32 v[42:43], v[54:55], v[42:43]
	s_delay_alu instid0(VALU_DEP_1) | instskip(SKIP_1) | instid1(VALU_DEP_1)
	v_dual_cndmask_b32 v42, v42, v40, s3 :: v_dual_cndmask_b32 v43, v43, v41, s3
	v_cmp_ngt_f64_e64 s3, 0, v[40:41]
	v_cndmask_b32_e64 v43, 0x7ff80000, v43, s3
	v_cmp_nge_f64_e64 s3, 0, v[40:41]
	s_delay_alu instid0(VALU_DEP_1) | instskip(SKIP_1) | instid1(VALU_DEP_1)
	v_cndmask_b32_e64 v42, 0, v42, s3
	v_cmp_neq_f64_e64 s3, 0, v[40:41]
	v_cndmask_b32_e64 v43, 0xfff00000, v43, s3
	s_delay_alu instid0(VALU_DEP_1) | instskip(SKIP_1) | instid1(VALU_DEP_1)
	v_add_f64_e32 v[38:39], v[38:39], v[42:43]
	s_wait_loadcnt 0x0
	v_add_f64_e32 v[38:39], v[60:61], v[38:39]
	s_or_b32 exec_lo, exec_lo, s41
	s_and_saveexec_b32 s3, s40
	s_cbranch_execz .LBB4_28
.LBB4_42:                               ;   in Loop: Header=BB4_29 Depth=2
	v_add_nc_u64_e32 v[40:41], v[36:37], v[10:11]
	global_store_b64 v[40:41], v[38:39], off
	s_branch .LBB4_28
.LBB4_43:
	s_sendmsg sendmsg(MSG_DEALLOC_VGPRS)
	s_endpgm
.LBB4_44:
                                        ; implicit-def: $sgpr2_sgpr3
	s_branch .LBB4_4
	.section	.rodata,"a",@progbits
	.p2align	6, 0x0
	.amdhsa_kernel _ZN2at6native12_GLOBAL__N_137ctc_loss_backward_log_beta_gpu_kernelIdlEEvPT_PKS3_PKllPKT0_S8_lllllllS8_lll
		.amdhsa_group_segment_fixed_size 0
		.amdhsa_private_segment_fixed_size 0
		.amdhsa_kernarg_size 392
		.amdhsa_user_sgpr_count 2
		.amdhsa_user_sgpr_dispatch_ptr 0
		.amdhsa_user_sgpr_queue_ptr 0
		.amdhsa_user_sgpr_kernarg_segment_ptr 1
		.amdhsa_user_sgpr_dispatch_id 0
		.amdhsa_user_sgpr_kernarg_preload_length 0
		.amdhsa_user_sgpr_kernarg_preload_offset 0
		.amdhsa_user_sgpr_private_segment_size 0
		.amdhsa_wavefront_size32 1
		.amdhsa_uses_dynamic_stack 0
		.amdhsa_enable_private_segment 0
		.amdhsa_system_sgpr_workgroup_id_x 1
		.amdhsa_system_sgpr_workgroup_id_y 1
		.amdhsa_system_sgpr_workgroup_id_z 0
		.amdhsa_system_sgpr_workgroup_info 0
		.amdhsa_system_vgpr_workitem_id 1
		.amdhsa_next_free_vgpr 65
		.amdhsa_next_free_sgpr 42
		.amdhsa_named_barrier_count 0
		.amdhsa_reserve_vcc 1
		.amdhsa_float_round_mode_32 0
		.amdhsa_float_round_mode_16_64 0
		.amdhsa_float_denorm_mode_32 3
		.amdhsa_float_denorm_mode_16_64 3
		.amdhsa_fp16_overflow 0
		.amdhsa_memory_ordered 1
		.amdhsa_forward_progress 1
		.amdhsa_inst_pref_size 31
		.amdhsa_round_robin_scheduling 0
		.amdhsa_exception_fp_ieee_invalid_op 0
		.amdhsa_exception_fp_denorm_src 0
		.amdhsa_exception_fp_ieee_div_zero 0
		.amdhsa_exception_fp_ieee_overflow 0
		.amdhsa_exception_fp_ieee_underflow 0
		.amdhsa_exception_fp_ieee_inexact 0
		.amdhsa_exception_int_div_zero 0
	.end_amdhsa_kernel
	.section	.text._ZN2at6native12_GLOBAL__N_137ctc_loss_backward_log_beta_gpu_kernelIdlEEvPT_PKS3_PKllPKT0_S8_lllllllS8_lll,"axG",@progbits,_ZN2at6native12_GLOBAL__N_137ctc_loss_backward_log_beta_gpu_kernelIdlEEvPT_PKS3_PKllPKT0_S8_lllllllS8_lll,comdat
.Lfunc_end4:
	.size	_ZN2at6native12_GLOBAL__N_137ctc_loss_backward_log_beta_gpu_kernelIdlEEvPT_PKS3_PKllPKT0_S8_lllllllS8_lll, .Lfunc_end4-_ZN2at6native12_GLOBAL__N_137ctc_loss_backward_log_beta_gpu_kernelIdlEEvPT_PKS3_PKllPKT0_S8_lllllllS8_lll
                                        ; -- End function
	.set _ZN2at6native12_GLOBAL__N_137ctc_loss_backward_log_beta_gpu_kernelIdlEEvPT_PKS3_PKllPKT0_S8_lllllllS8_lll.num_vgpr, 65
	.set _ZN2at6native12_GLOBAL__N_137ctc_loss_backward_log_beta_gpu_kernelIdlEEvPT_PKS3_PKllPKT0_S8_lllllllS8_lll.num_agpr, 0
	.set _ZN2at6native12_GLOBAL__N_137ctc_loss_backward_log_beta_gpu_kernelIdlEEvPT_PKS3_PKllPKT0_S8_lllllllS8_lll.numbered_sgpr, 42
	.set _ZN2at6native12_GLOBAL__N_137ctc_loss_backward_log_beta_gpu_kernelIdlEEvPT_PKS3_PKllPKT0_S8_lllllllS8_lll.num_named_barrier, 0
	.set _ZN2at6native12_GLOBAL__N_137ctc_loss_backward_log_beta_gpu_kernelIdlEEvPT_PKS3_PKllPKT0_S8_lllllllS8_lll.private_seg_size, 0
	.set _ZN2at6native12_GLOBAL__N_137ctc_loss_backward_log_beta_gpu_kernelIdlEEvPT_PKS3_PKllPKT0_S8_lllllllS8_lll.uses_vcc, 1
	.set _ZN2at6native12_GLOBAL__N_137ctc_loss_backward_log_beta_gpu_kernelIdlEEvPT_PKS3_PKllPKT0_S8_lllllllS8_lll.uses_flat_scratch, 0
	.set _ZN2at6native12_GLOBAL__N_137ctc_loss_backward_log_beta_gpu_kernelIdlEEvPT_PKS3_PKllPKT0_S8_lllllllS8_lll.has_dyn_sized_stack, 0
	.set _ZN2at6native12_GLOBAL__N_137ctc_loss_backward_log_beta_gpu_kernelIdlEEvPT_PKS3_PKllPKT0_S8_lllllllS8_lll.has_recursion, 0
	.set _ZN2at6native12_GLOBAL__N_137ctc_loss_backward_log_beta_gpu_kernelIdlEEvPT_PKS3_PKllPKT0_S8_lllllllS8_lll.has_indirect_call, 0
	.section	.AMDGPU.csdata,"",@progbits
; Kernel info:
; codeLenInByte = 3960
; TotalNumSgprs: 44
; NumVgprs: 65
; ScratchSize: 0
; MemoryBound: 0
; FloatMode: 240
; IeeeMode: 1
; LDSByteSize: 0 bytes/workgroup (compile time only)
; SGPRBlocks: 0
; VGPRBlocks: 4
; NumSGPRsForWavesPerEU: 44
; NumVGPRsForWavesPerEU: 65
; NamedBarCnt: 0
; Occupancy: 12
; WaveLimiterHint : 1
; COMPUTE_PGM_RSRC2:SCRATCH_EN: 0
; COMPUTE_PGM_RSRC2:USER_SGPR: 2
; COMPUTE_PGM_RSRC2:TRAP_HANDLER: 0
; COMPUTE_PGM_RSRC2:TGID_X_EN: 1
; COMPUTE_PGM_RSRC2:TGID_Y_EN: 1
; COMPUTE_PGM_RSRC2:TGID_Z_EN: 0
; COMPUTE_PGM_RSRC2:TIDIG_COMP_CNT: 1
	.section	.text._ZN2at6native12_GLOBAL__N_145ctc_loss_backward_collect_nonblank_gpu_kernelIdlEEvPT_PKS3_lS6_S6_S6_PKlPKT0_S8_S6_llllllllllllS8_llb,"axG",@progbits,_ZN2at6native12_GLOBAL__N_145ctc_loss_backward_collect_nonblank_gpu_kernelIdlEEvPT_PKS3_lS6_S6_S6_PKlPKT0_S8_S6_llllllllllllS8_llb,comdat
	.globl	_ZN2at6native12_GLOBAL__N_145ctc_loss_backward_collect_nonblank_gpu_kernelIdlEEvPT_PKS3_lS6_S6_S6_PKlPKT0_S8_S6_llllllllllllS8_llb ; -- Begin function _ZN2at6native12_GLOBAL__N_145ctc_loss_backward_collect_nonblank_gpu_kernelIdlEEvPT_PKS3_lS6_S6_S6_PKlPKT0_S8_S6_llllllllllllS8_llb
	.p2align	8
	.type	_ZN2at6native12_GLOBAL__N_145ctc_loss_backward_collect_nonblank_gpu_kernelIdlEEvPT_PKS3_lS6_S6_S6_PKlPKT0_S8_S6_llllllllllllS8_llb,@function
_ZN2at6native12_GLOBAL__N_145ctc_loss_backward_collect_nonblank_gpu_kernelIdlEEvPT_PKS3_lS6_S6_S6_PKlPKT0_S8_S6_llllllllllllS8_llb: ; @_ZN2at6native12_GLOBAL__N_145ctc_loss_backward_collect_nonblank_gpu_kernelIdlEEvPT_PKS3_lS6_S6_S6_PKlPKT0_S8_S6_llllllllllllS8_llb
; %bb.0:
	s_clause 0x1
	s_load_b32 s2, s[0:1], 0xdc
	s_load_b128 s[4:7], s[0:1], 0xb8
	s_bfe_u32 s3, ttmp6, 0x40010
	s_bfe_u32 s8, ttmp6, 0x40004
	s_add_co_i32 s3, s3, 1
	v_bfe_u32 v1, v0, 10, 10
	s_mul_i32 s9, ttmp7, s3
	s_getreg_b32 s3, hwreg(HW_REG_IB_STS2, 6, 4)
	s_add_co_i32 s8, s8, s9
	v_mov_b32_e32 v5, 0
	s_wait_kmcnt 0x0
	s_lshr_b32 s9, s2, 16
	s_cmp_eq_u32 s3, 0
	s_cselect_b32 s8, ttmp7, s8
	s_delay_alu instid0(SALU_CYCLE_1) | instskip(NEXT) | instid1(VALU_DEP_1)
	v_mad_u32 v4, s8, s9, v1
	v_cmp_gt_i64_e32 vcc_lo, s[6:7], v[4:5]
	s_and_saveexec_b32 s6, vcc_lo
	s_cbranch_execz .LBB5_5
; %bb.1:
	s_load_b64 s[6:7], s[0:1], 0x40
	v_and_b32_e32 v0, 0x3ff, v0
	v_mov_b32_e32 v1, v5
	s_and_b32 s2, s2, 0xffff
	s_wait_kmcnt 0x0
	v_lshl_add_u64 v[2:3], v[4:5], 3, s[6:7]
	s_bfe_u32 s6, ttmp6, 0x4000c
	s_and_b32 s7, ttmp6, 15
	s_add_co_i32 s6, s6, 1
	s_delay_alu instid0(SALU_CYCLE_1) | instskip(SKIP_4) | instid1(SALU_CYCLE_1)
	s_mul_i32 s6, ttmp9, s6
	global_load_b64 v[2:3], v[2:3], off
	s_add_co_i32 s7, s7, s6
	s_cmp_eq_u32 s3, 0
	s_cselect_b32 s3, ttmp9, s7
	v_mad_nc_u64_u32 v[8:9], s2, s3, v[0:1]
	s_wait_loadcnt 0x0
	s_delay_alu instid0(VALU_DEP_1)
	v_cmp_lt_i64_e32 vcc_lo, v[8:9], v[2:3]
	s_and_b32 exec_lo, exec_lo, vcc_lo
	s_cbranch_execz .LBB5_5
; %bb.2:
	s_load_b64 s[2:3], s[0:1], 0x48
	v_lshlrev_b64_e32 v[2:3], 3, v[4:5]
	s_clause 0x1
	s_load_b32 s8, s[0:1], 0xc8
	s_load_b64 s[6:7], s[0:1], 0x30
	s_wait_kmcnt 0x0
	s_delay_alu instid0(VALU_DEP_1) | instskip(SKIP_3) | instid1(SALU_CYCLE_1)
	v_add_nc_u64_e32 v[0:1], s[2:3], v[2:3]
	s_bitcmp1_b32 s8, 0
	v_add_nc_u64_e32 v[2:3], s[6:7], v[2:3]
	s_cselect_b32 s3, -1, 0
	s_xor_b32 s3, s3, -1
	global_load_b64 v[0:1], v[0:1], off
	global_load_b64 v[2:3], v[2:3], off
	s_wait_loadcnt 0x1
	v_cmp_neq_f64_e32 vcc_lo, 0x7ff00000, v[0:1]
	s_wait_loadcnt 0x0
	v_cmp_lt_i64_e64 s2, 0, v[2:3]
	s_or_b32 s3, s3, vcc_lo
	s_delay_alu instid0(SALU_CYCLE_1) | instskip(NEXT) | instid1(SALU_CYCLE_1)
	s_and_b32 s2, s3, s2
	s_and_b32 exec_lo, exec_lo, s2
	s_cbranch_execz .LBB5_5
; %bb.3:
	s_load_b64 s[2:3], s[0:1], 0xb0
	v_mul_u64_e32 v[10:11], s[4:5], v[8:9]
	v_lshlrev_b64_e32 v[8:9], 1, v[8:9]
	s_delay_alu instid0(VALU_DEP_1)
	v_or_b32_e32 v8, 1, v8
	s_wait_kmcnt 0x0
	v_lshl_add_u64 v[6:7], v[4:5], 3, s[2:3]
	global_load_b64 v[6:7], v[6:7], off
	s_clause 0x1
	s_load_b64 s[2:3], s[0:1], 0x38
	s_load_b256 s[20:27], s[0:1], 0x0
	s_wait_loadcnt 0x0
	s_wait_kmcnt 0x0
	v_lshl_add_u64 v[6:7], v[6:7], 3, s[2:3]
	s_delay_alu instid0(VALU_DEP_1) | instskip(SKIP_3) | instid1(VALU_DEP_1)
	v_lshl_add_u64 v[6:7], v[10:11], 3, v[6:7]
	global_load_b64 v[10:11], v[6:7], off
	s_wait_xcnt 0x0
	v_mul_u64_e32 v[6:7], s[24:25], v[4:5]
	v_lshl_add_u64 v[6:7], v[6:7], 3, s[22:23]
	global_load_b64 v[6:7], v[6:7], off
	s_clause 0x1
	s_load_b512 s[4:19], s[0:1], 0x50
	s_load_b256 s[36:43], s[0:1], 0x90
	s_wait_kmcnt 0x0
	v_mul_u64_e32 v[12:13], s[16:17], v[4:5]
	v_mul_u64_e32 v[14:15], s[38:39], v[4:5]
	;; [unrolled: 1-line block ×6, first 2 shown]
	s_load_b128 s[0:3], s[0:1], 0x20
	v_mov_b64_e32 v[4:5], 0x3e928af3fca7ab0c
	s_lshl_b64 s[6:7], s[18:19], 3
	s_lshl_b64 s[4:5], s[4:5], 3
	v_lshl_add_u64 v[8:9], v[12:13], 3, s[26:27]
	s_wait_kmcnt 0x0
	v_lshl_add_u64 v[12:13], v[16:17], 3, s[2:3]
	s_lshl_b64 s[2:3], s[40:41], 3
                                        ; implicit-def: $vgpr16_vgpr17
                                        ; implicit-def: $vgpr16_vgpr17
	;; [unrolled: 1-line block ×8, first 2 shown]
	s_delay_alu instid0(VALU_DEP_2)
	v_lshl_add_u64 v[8:9], v[20:21], 3, v[8:9]
	s_wait_loadcnt 0x1
	v_mul_u64_e32 v[24:25], s[14:15], v[10:11]
	v_mul_u64_e32 v[26:27], s[8:9], v[10:11]
	v_lshl_add_u64 v[10:11], v[14:15], 3, s[0:1]
	v_lshl_add_u64 v[14:15], v[18:19], 3, s[20:21]
	s_lshl_b64 s[8:9], s[10:11], 3
	s_mov_b32 s1, 0
	s_delay_alu instid0(VALU_DEP_2)
	v_lshl_add_u64 v[10:11], v[22:23], 3, v[10:11]
	v_lshl_add_u64 v[12:13], v[24:25], 3, v[12:13]
	;; [unrolled: 1-line block ×3, first 2 shown]
.LBB5_4:                                ; =>This Inner Loop Header: Depth=1
	global_load_b64 v[16:17], v[8:9], off
	global_load_b64 v[18:19], v[10:11], off
	;; [unrolled: 1-line block ×3, first 2 shown]
	v_add_nc_u64_e32 v[2:3], -1, v[2:3]
	s_wait_xcnt 0x1
	v_add_nc_u64_e32 v[10:11], s[2:3], v[10:11]
	v_add_nc_u64_e32 v[8:9], s[6:7], v[8:9]
	s_wait_xcnt 0x0
	v_add_nc_u64_e32 v[12:13], s[8:9], v[12:13]
	s_wait_loadcnt 0x1
	v_add_f64_e32 v[16:17], v[16:17], v[18:19]
	s_delay_alu instid0(VALU_DEP_1) | instskip(SKIP_1) | instid1(VALU_DEP_1)
	v_add_f64_e32 v[16:17], v[0:1], v[16:17]
	s_wait_loadcnt 0x0
	v_add_f64_e64 v[16:17], v[16:17], -v[20:21]
	s_delay_alu instid0(VALU_DEP_1) | instskip(SKIP_2) | instid1(VALU_DEP_3)
	v_mul_f64_e32 v[18:19], 0x3ff71547652b82fe, v[16:17]
	v_cmp_nlt_f64_e32 vcc_lo, 0x40900000, v[16:17]
	v_cmp_ngt_f64_e64 s0, 0xc090cc00, v[16:17]
	v_rndne_f64_e32 v[18:19], v[18:19]
	s_delay_alu instid0(VALU_DEP_1) | instskip(SKIP_1) | instid1(VALU_DEP_2)
	v_fmamk_f64 v[20:21], v[18:19], 0xbfe62e42fefa39ef, v[16:17]
	v_cvt_i32_f64_e32 v24, v[18:19]
	v_fmac_f64_e32 v[20:21], 0xbc7abc9e3b39803f, v[18:19]
	s_delay_alu instid0(VALU_DEP_1) | instskip(NEXT) | instid1(VALU_DEP_1)
	v_fmamk_f64 v[22:23], v[20:21], 0x3e5ade156a5dcb37, v[4:5]
	v_fmaak_f64 v[22:23], v[20:21], v[22:23], 0x3ec71dee623fde64
	s_delay_alu instid0(VALU_DEP_1) | instskip(NEXT) | instid1(VALU_DEP_1)
	v_fmaak_f64 v[22:23], v[20:21], v[22:23], 0x3efa01997c89e6b0
	v_fmaak_f64 v[22:23], v[20:21], v[22:23], 0x3f2a01a014761f6e
	s_delay_alu instid0(VALU_DEP_1) | instskip(NEXT) | instid1(VALU_DEP_1)
	v_fmaak_f64 v[22:23], v[20:21], v[22:23], 0x3f56c16c1852b7b0
	;; [unrolled: 3-line block ×4, first 2 shown]
	v_fma_f64 v[22:23], v[20:21], v[22:23], 1.0
	s_delay_alu instid0(VALU_DEP_1) | instskip(NEXT) | instid1(VALU_DEP_1)
	v_fma_f64 v[18:19], v[20:21], v[22:23], 1.0
	v_ldexp_f64 v[18:19], -v[18:19], v24
	s_delay_alu instid0(VALU_DEP_1) | instskip(SKIP_1) | instid1(VALU_DEP_2)
	v_cndmask_b32_e32 v19, 0xfff00000, v19, vcc_lo
	s_and_b32 vcc_lo, s0, vcc_lo
	v_cndmask_b32_e32 v16, 0, v18, vcc_lo
	v_cmp_eq_u64_e32 vcc_lo, 0, v[2:3]
	s_delay_alu instid0(VALU_DEP_3) | instskip(NEXT) | instid1(VALU_DEP_1)
	v_cndmask_b32_e64 v17, 0x80000000, v19, s0
	v_mul_f64_e32 v[16:17], v[6:7], v[16:17]
	s_or_b32 s1, vcc_lo, s1
	global_atomic_add_f64 v[14:15], v[16:17], off scope:SCOPE_DEV
	s_wait_xcnt 0x0
	v_add_nc_u64_e32 v[14:15], s[4:5], v[14:15]
	s_and_not1_b32 exec_lo, exec_lo, s1
	s_cbranch_execnz .LBB5_4
.LBB5_5:
	s_endpgm
	.section	.rodata,"a",@progbits
	.p2align	6, 0x0
	.amdhsa_kernel _ZN2at6native12_GLOBAL__N_145ctc_loss_backward_collect_nonblank_gpu_kernelIdlEEvPT_PKS3_lS6_S6_S6_PKlPKT0_S8_S6_llllllllllllS8_llb
		.amdhsa_group_segment_fixed_size 0
		.amdhsa_private_segment_fixed_size 0
		.amdhsa_kernarg_size 464
		.amdhsa_user_sgpr_count 2
		.amdhsa_user_sgpr_dispatch_ptr 0
		.amdhsa_user_sgpr_queue_ptr 0
		.amdhsa_user_sgpr_kernarg_segment_ptr 1
		.amdhsa_user_sgpr_dispatch_id 0
		.amdhsa_user_sgpr_kernarg_preload_length 0
		.amdhsa_user_sgpr_kernarg_preload_offset 0
		.amdhsa_user_sgpr_private_segment_size 0
		.amdhsa_wavefront_size32 1
		.amdhsa_uses_dynamic_stack 0
		.amdhsa_enable_private_segment 0
		.amdhsa_system_sgpr_workgroup_id_x 1
		.amdhsa_system_sgpr_workgroup_id_y 1
		.amdhsa_system_sgpr_workgroup_id_z 0
		.amdhsa_system_sgpr_workgroup_info 0
		.amdhsa_system_vgpr_workitem_id 1
		.amdhsa_next_free_vgpr 28
		.amdhsa_next_free_sgpr 44
		.amdhsa_named_barrier_count 0
		.amdhsa_reserve_vcc 1
		.amdhsa_float_round_mode_32 0
		.amdhsa_float_round_mode_16_64 0
		.amdhsa_float_denorm_mode_32 3
		.amdhsa_float_denorm_mode_16_64 3
		.amdhsa_fp16_overflow 0
		.amdhsa_memory_ordered 1
		.amdhsa_forward_progress 1
		.amdhsa_inst_pref_size 9
		.amdhsa_round_robin_scheduling 0
		.amdhsa_exception_fp_ieee_invalid_op 0
		.amdhsa_exception_fp_denorm_src 0
		.amdhsa_exception_fp_ieee_div_zero 0
		.amdhsa_exception_fp_ieee_overflow 0
		.amdhsa_exception_fp_ieee_underflow 0
		.amdhsa_exception_fp_ieee_inexact 0
		.amdhsa_exception_int_div_zero 0
	.end_amdhsa_kernel
	.section	.text._ZN2at6native12_GLOBAL__N_145ctc_loss_backward_collect_nonblank_gpu_kernelIdlEEvPT_PKS3_lS6_S6_S6_PKlPKT0_S8_S6_llllllllllllS8_llb,"axG",@progbits,_ZN2at6native12_GLOBAL__N_145ctc_loss_backward_collect_nonblank_gpu_kernelIdlEEvPT_PKS3_lS6_S6_S6_PKlPKT0_S8_S6_llllllllllllS8_llb,comdat
.Lfunc_end5:
	.size	_ZN2at6native12_GLOBAL__N_145ctc_loss_backward_collect_nonblank_gpu_kernelIdlEEvPT_PKS3_lS6_S6_S6_PKlPKT0_S8_S6_llllllllllllS8_llb, .Lfunc_end5-_ZN2at6native12_GLOBAL__N_145ctc_loss_backward_collect_nonblank_gpu_kernelIdlEEvPT_PKS3_lS6_S6_S6_PKlPKT0_S8_S6_llllllllllllS8_llb
                                        ; -- End function
	.set _ZN2at6native12_GLOBAL__N_145ctc_loss_backward_collect_nonblank_gpu_kernelIdlEEvPT_PKS3_lS6_S6_S6_PKlPKT0_S8_S6_llllllllllllS8_llb.num_vgpr, 28
	.set _ZN2at6native12_GLOBAL__N_145ctc_loss_backward_collect_nonblank_gpu_kernelIdlEEvPT_PKS3_lS6_S6_S6_PKlPKT0_S8_S6_llllllllllllS8_llb.num_agpr, 0
	.set _ZN2at6native12_GLOBAL__N_145ctc_loss_backward_collect_nonblank_gpu_kernelIdlEEvPT_PKS3_lS6_S6_S6_PKlPKT0_S8_S6_llllllllllllS8_llb.numbered_sgpr, 44
	.set _ZN2at6native12_GLOBAL__N_145ctc_loss_backward_collect_nonblank_gpu_kernelIdlEEvPT_PKS3_lS6_S6_S6_PKlPKT0_S8_S6_llllllllllllS8_llb.num_named_barrier, 0
	.set _ZN2at6native12_GLOBAL__N_145ctc_loss_backward_collect_nonblank_gpu_kernelIdlEEvPT_PKS3_lS6_S6_S6_PKlPKT0_S8_S6_llllllllllllS8_llb.private_seg_size, 0
	.set _ZN2at6native12_GLOBAL__N_145ctc_loss_backward_collect_nonblank_gpu_kernelIdlEEvPT_PKS3_lS6_S6_S6_PKlPKT0_S8_S6_llllllllllllS8_llb.uses_vcc, 1
	.set _ZN2at6native12_GLOBAL__N_145ctc_loss_backward_collect_nonblank_gpu_kernelIdlEEvPT_PKS3_lS6_S6_S6_PKlPKT0_S8_S6_llllllllllllS8_llb.uses_flat_scratch, 0
	.set _ZN2at6native12_GLOBAL__N_145ctc_loss_backward_collect_nonblank_gpu_kernelIdlEEvPT_PKS3_lS6_S6_S6_PKlPKT0_S8_S6_llllllllllllS8_llb.has_dyn_sized_stack, 0
	.set _ZN2at6native12_GLOBAL__N_145ctc_loss_backward_collect_nonblank_gpu_kernelIdlEEvPT_PKS3_lS6_S6_S6_PKlPKT0_S8_S6_llllllllllllS8_llb.has_recursion, 0
	.set _ZN2at6native12_GLOBAL__N_145ctc_loss_backward_collect_nonblank_gpu_kernelIdlEEvPT_PKS3_lS6_S6_S6_PKlPKT0_S8_S6_llllllllllllS8_llb.has_indirect_call, 0
	.section	.AMDGPU.csdata,"",@progbits
; Kernel info:
; codeLenInByte = 1056
; TotalNumSgprs: 46
; NumVgprs: 28
; ScratchSize: 0
; MemoryBound: 0
; FloatMode: 240
; IeeeMode: 1
; LDSByteSize: 0 bytes/workgroup (compile time only)
; SGPRBlocks: 0
; VGPRBlocks: 1
; NumSGPRsForWavesPerEU: 46
; NumVGPRsForWavesPerEU: 28
; NamedBarCnt: 0
; Occupancy: 16
; WaveLimiterHint : 1
; COMPUTE_PGM_RSRC2:SCRATCH_EN: 0
; COMPUTE_PGM_RSRC2:USER_SGPR: 2
; COMPUTE_PGM_RSRC2:TRAP_HANDLER: 0
; COMPUTE_PGM_RSRC2:TGID_X_EN: 1
; COMPUTE_PGM_RSRC2:TGID_Y_EN: 1
; COMPUTE_PGM_RSRC2:TGID_Z_EN: 0
; COMPUTE_PGM_RSRC2:TIDIG_COMP_CNT: 1
	.section	.text._ZN2at6native12_GLOBAL__N_136ctc_loss_backward_collect_gpu_kernelIdlEEvPT_PKS3_lS6_S6_S6_PKllPKT0_S8_lS6_llllllllllllS8_llllb,"axG",@progbits,_ZN2at6native12_GLOBAL__N_136ctc_loss_backward_collect_gpu_kernelIdlEEvPT_PKS3_lS6_S6_S6_PKllPKT0_S8_lS6_llllllllllllS8_llllb,comdat
	.globl	_ZN2at6native12_GLOBAL__N_136ctc_loss_backward_collect_gpu_kernelIdlEEvPT_PKS3_lS6_S6_S6_PKllPKT0_S8_lS6_llllllllllllS8_llllb ; -- Begin function _ZN2at6native12_GLOBAL__N_136ctc_loss_backward_collect_gpu_kernelIdlEEvPT_PKS3_lS6_S6_S6_PKllPKT0_S8_lS6_llllllllllllS8_llllb
	.p2align	8
	.type	_ZN2at6native12_GLOBAL__N_136ctc_loss_backward_collect_gpu_kernelIdlEEvPT_PKS3_lS6_S6_S6_PKllPKT0_S8_lS6_llllllllllllS8_llllb,@function
_ZN2at6native12_GLOBAL__N_136ctc_loss_backward_collect_gpu_kernelIdlEEvPT_PKS3_lS6_S6_S6_PKllPKT0_S8_lS6_llllllllllllS8_llllb: ; @_ZN2at6native12_GLOBAL__N_136ctc_loss_backward_collect_gpu_kernelIdlEEvPT_PKS3_lS6_S6_S6_PKllPKT0_S8_lS6_llllllllllllS8_llllb
; %bb.0:
	s_load_b32 s4, s[0:1], 0xfc
	s_bfe_u32 s6, ttmp6, 0x4000c
	s_bfe_u32 s7, ttmp6, 0x40010
	v_mov_b32_e32 v1, 0
	s_clause 0x1
	s_load_b64 s[2:3], s[0:1], 0x38
	s_load_b256 s[20:27], s[0:1], 0xc8
	s_add_co_i32 s6, s6, 1
	s_add_co_i32 s7, s7, 1
	s_and_b32 s5, ttmp6, 15
	s_bfe_u32 s8, ttmp6, 0x40004
	s_mul_i32 s6, ttmp9, s6
	s_mul_i32 s7, ttmp7, s7
	s_getreg_b32 s9, hwreg(HW_REG_IB_STS2, 6, 4)
	v_bfe_u32 v4, v0, 10, 10
	v_and_b32_e32 v2, 0x3ff, v0
	v_mov_b32_e32 v3, v1
	s_add_co_i32 s5, s5, s6
	s_add_co_i32 s8, s8, s7
	s_wait_kmcnt 0x0
	s_lshr_b32 s6, s4, 16
	s_and_b32 s4, s4, 0xffff
	s_cmp_eq_u32 s9, 0
	s_cselect_b32 s5, ttmp9, s5
	s_cselect_b32 s7, ttmp7, s8
	v_mad_nc_u64_u32 v[2:3], s4, s5, v[2:3]
	v_mad_u32 v0, s7, s6, v4
	s_delay_alu instid0(VALU_DEP_2) | instskip(NEXT) | instid1(VALU_DEP_2)
	v_cmp_gt_i64_e32 vcc_lo, s[2:3], v[2:3]
	v_cmp_gt_i64_e64 s2, s[22:23], v[0:1]
	s_and_b32 s2, vcc_lo, s2
	s_delay_alu instid0(SALU_CYCLE_1)
	s_and_saveexec_b32 s3, s2
	s_cbranch_execz .LBB6_15
; %bb.1:
	s_clause 0x1
	s_load_b64 s[4:5], s[0:1], 0x30
	s_load_b64 s[2:3], s[0:1], 0x50
	s_mov_b64 s[22:23], 0
	s_wait_kmcnt 0x0
	v_lshl_add_u64 v[4:5], v[0:1], 3, s[4:5]
	s_load_b512 s[4:19], s[0:1], 0x60
	global_load_b64 v[4:5], v[4:5], off
	s_wait_kmcnt 0x0
	v_mul_u64_e32 v[8:9], s[6:7], v[0:1]
	v_mul_u64_e32 v[6:7], s[4:5], v[2:3]
	s_load_b64 s[4:5], s[0:1], 0x0
	v_cmp_lt_i64_e64 s6, s[2:3], 0
	s_and_b32 vcc_lo, exec_lo, s6
	s_wait_kmcnt 0x0
	v_lshl_add_u64 v[8:9], v[8:9], 3, s[4:5]
	s_cbranch_vccnz .LBB6_10
; %bb.2:
	s_clause 0x1
	s_load_b128 s[4:7], s[0:1], 0x40
	s_load_b64 s[34:35], s[0:1], 0xc0
	v_lshlrev_b64_e32 v[10:11], 3, v[0:1]
	s_load_b256 s[36:43], s[0:1], 0xa0
	v_mul_u64_e32 v[14:15], s[18:19], v[2:3]
	s_load_b128 s[28:31], s[0:1], 0x18
	s_lshl_b64 s[18:19], s[2:3], 1
	s_wait_kmcnt 0x0
	s_delay_alu instid0(VALU_DEP_2)
	v_add_nc_u64_e32 v[12:13], s[6:7], v[10:11]
	v_add_nc_u64_e32 v[10:11], s[34:35], v[10:11]
	s_mov_b64 s[6:7], 0x3fe5555555555555
	v_mul_u64_e32 v[20:21], s[38:39], v[0:1]
	v_mul_u64_e32 v[22:23], s[40:41], v[2:3]
	global_load_b64 v[16:17], v[12:13], off
	global_load_b64 v[18:19], v[10:11], off
	s_wait_xcnt 0x0
	v_mul_u64_e32 v[10:11], s[16:17], v[0:1]
	v_mov_b64_e32 v[12:13], 0x3fc385386b47b09a
	s_mov_b64 s[16:17], 0x3fe62e42fefa39ef
	v_lshl_add_u64 v[20:21], v[20:21], 3, s[30:31]
	s_lshl_b64 s[30:31], s[42:43], 3
	s_delay_alu instid0(VALU_DEP_1) | instskip(NEXT) | instid1(VALU_DEP_4)
	v_lshl_add_u64 v[20:21], v[22:23], 3, v[20:21]
	v_lshl_add_u64 v[24:25], v[10:11], 3, s[28:29]
	v_mov_b64_e32 v[10:11], 0x3e928af3fca7ab0c
	v_lshl_add_u64 v[22:23], v[6:7], 3, v[8:9]
	s_lshl_b64 s[28:29], s[36:37], 3
	s_delay_alu instid0(VALU_DEP_3)
	v_lshl_add_u64 v[14:15], v[14:15], 3, v[24:25]
                                        ; implicit-def: $vgpr24_vgpr25
                                        ; implicit-def: $vgpr24_vgpr25
	;; [unrolled: 1-line block ×13, first 2 shown]
	s_wait_loadcnt 0x1
	v_lshlrev_b64_e32 v[16:17], 1, v[16:17]
	s_wait_loadcnt 0x0
	v_lshl_add_u64 v[18:19], v[18:19], 3, s[4:5]
	s_branch .LBB6_5
.LBB6_3:                                ;   in Loop: Header=BB6_5 Depth=1
	s_or_b32 exec_lo, exec_lo, s33
	global_store_b64 v[24:25], v[28:29], off
.LBB6_4:                                ;   in Loop: Header=BB6_5 Depth=1
	s_wait_xcnt 0x0
	s_or_b32 exec_lo, exec_lo, s5
	s_add_nc_u64 s[22:23], s[22:23], 1
	v_add_nc_u64_e32 v[14:15], s[28:29], v[14:15]
	v_cmp_lt_i64_e64 s2, s[18:19], s[22:23]
	v_add_nc_u64_e32 v[20:21], s[30:31], v[20:21]
	s_and_b32 vcc_lo, exec_lo, s2
	s_cbranch_vccnz .LBB6_10
.LBB6_5:                                ; =>This Inner Loop Header: Depth=1
	s_mov_b32 s5, exec_lo
	s_delay_alu instid0(VALU_DEP_2)
	v_cmpx_le_i64_e64 s[22:23], v[16:17]
	s_cbranch_execz .LBB6_4
; %bb.6:                                ;   in Loop: Header=BB6_5 Depth=1
	v_mov_b64_e32 v[24:25], s[26:27]
	s_bitcmp0_b64 s[22:23], 0
	s_cbranch_scc1 .LBB6_8
; %bb.7:                                ;   in Loop: Header=BB6_5 Depth=1
	s_lshr_b64 s[2:3], s[22:23], 1
	s_delay_alu instid0(SALU_CYCLE_1) | instskip(NEXT) | instid1(SALU_CYCLE_1)
	s_mul_u64 s[2:3], s[20:21], s[2:3]
	v_lshl_add_u64 v[24:25], s[2:3], 3, v[18:19]
	global_load_b64 v[24:25], v[24:25], off
.LBB6_8:                                ;   in Loop: Header=BB6_5 Depth=1
	s_wait_loadcnt 0x0
	s_wait_xcnt 0x0
	s_delay_alu instid0(VALU_DEP_1) | instskip(SKIP_1) | instid1(VALU_DEP_1)
	v_mul_u64_e32 v[24:25], s[8:9], v[24:25]
	s_mov_b32 s33, exec_lo
	v_lshl_add_u64 v[24:25], v[24:25], 3, v[22:23]
	global_load_b64 v[26:27], v[14:15], off
	global_load_b64 v[28:29], v[20:21], off
	;; [unrolled: 1-line block ×3, first 2 shown]
	s_wait_loadcnt 0x1
	v_add_f64_e32 v[28:29], v[26:27], v[28:29]
	s_wait_loadcnt 0x0
	s_wait_xcnt 0x0
	v_cmpx_neq_f64_e32 0xfff00000, v[30:31]
	s_cbranch_execz .LBB6_3
; %bb.9:                                ;   in Loop: Header=BB6_5 Depth=1
	s_delay_alu instid0(VALU_DEP_2) | instskip(SKIP_1) | instid1(VALU_DEP_1)
	v_cmp_gt_f64_e32 vcc_lo, v[30:31], v[28:29]
	v_dual_cndmask_b32 v27, v29, v31 :: v_dual_cndmask_b32 v26, v28, v30
	v_add_f64_e64 v[30:31], v[30:31], -v[26:27]
	v_add_f64_e64 v[28:29], v[28:29], -v[26:27]
	s_delay_alu instid0(VALU_DEP_2) | instskip(NEXT) | instid1(VALU_DEP_2)
	v_mul_f64_e32 v[32:33], 0x3ff71547652b82fe, v[30:31]
	v_mul_f64_e32 v[34:35], 0x3ff71547652b82fe, v[28:29]
	v_cmp_nlt_f64_e64 s3, 0x40900000, v[28:29]
	v_cmp_nlt_f64_e32 vcc_lo, 0x40900000, v[30:31]
	v_cmp_ngt_f64_e64 s2, 0xc090cc00, v[30:31]
	v_cmp_ngt_f64_e64 s4, 0xc090cc00, v[28:29]
	v_rndne_f64_e32 v[32:33], v[32:33]
	v_rndne_f64_e32 v[34:35], v[34:35]
	s_delay_alu instid0(VALU_DEP_2) | instskip(NEXT) | instid1(VALU_DEP_2)
	v_fmamk_f64 v[36:37], v[32:33], 0xbfe62e42fefa39ef, v[30:31]
	v_fmamk_f64 v[38:39], v[34:35], 0xbfe62e42fefa39ef, v[28:29]
	v_cvt_i32_f64_e32 v44, v[32:33]
	s_delay_alu instid0(VALU_DEP_3) | instskip(NEXT) | instid1(VALU_DEP_3)
	v_fmac_f64_e32 v[36:37], 0xbc7abc9e3b39803f, v[32:33]
	v_fmac_f64_e32 v[38:39], 0xbc7abc9e3b39803f, v[34:35]
	s_delay_alu instid0(VALU_DEP_2) | instskip(NEXT) | instid1(VALU_DEP_2)
	v_fmamk_f64 v[40:41], v[36:37], 0x3e5ade156a5dcb37, v[10:11]
	v_fmamk_f64 v[42:43], v[38:39], 0x3e5ade156a5dcb37, v[10:11]
	s_delay_alu instid0(VALU_DEP_2) | instskip(NEXT) | instid1(VALU_DEP_2)
	v_fmaak_f64 v[40:41], v[36:37], v[40:41], 0x3ec71dee623fde64
	v_fmaak_f64 v[42:43], v[38:39], v[42:43], 0x3ec71dee623fde64
	s_delay_alu instid0(VALU_DEP_2) | instskip(NEXT) | instid1(VALU_DEP_2)
	v_fmaak_f64 v[40:41], v[36:37], v[40:41], 0x3efa01997c89e6b0
	v_fmaak_f64 v[42:43], v[38:39], v[42:43], 0x3efa01997c89e6b0
	;; [unrolled: 3-line block ×8, first 2 shown]
	s_delay_alu instid0(VALU_DEP_2) | instskip(NEXT) | instid1(VALU_DEP_2)
	v_fma_f64 v[40:41], v[36:37], v[40:41], 1.0
	v_fma_f64 v[42:43], v[38:39], v[42:43], 1.0
	s_delay_alu instid0(VALU_DEP_2) | instskip(SKIP_1) | instid1(VALU_DEP_3)
	v_fma_f64 v[32:33], v[36:37], v[40:41], 1.0
	v_cvt_i32_f64_e32 v36, v[34:35]
	v_fma_f64 v[34:35], v[38:39], v[42:43], 1.0
	s_delay_alu instid0(VALU_DEP_3) | instskip(NEXT) | instid1(VALU_DEP_2)
	v_ldexp_f64 v[32:33], v[32:33], v44
	v_ldexp_f64 v[34:35], v[34:35], v36
	s_delay_alu instid0(VALU_DEP_2) | instskip(SKIP_1) | instid1(VALU_DEP_2)
	v_cndmask_b32_e32 v33, 0x7ff00000, v33, vcc_lo
	s_and_b32 vcc_lo, s2, vcc_lo
	v_cndmask_b32_e64 v30, 0x7ff00000, v35, s3
	s_delay_alu instid0(VALU_DEP_4) | instskip(SKIP_1) | instid1(VALU_DEP_2)
	v_cndmask_b32_e32 v28, 0, v32, vcc_lo
	s_and_b32 vcc_lo, s4, s3
	v_dual_cndmask_b32 v29, 0, v33, s2 :: v_dual_cndmask_b32 v31, 0, v30, s4
	v_cndmask_b32_e32 v30, 0, v34, vcc_lo
	s_delay_alu instid0(VALU_DEP_1) | instskip(NEXT) | instid1(VALU_DEP_1)
	v_add_f64_e32 v[28:29], v[28:29], v[30:31]
	v_frexp_mant_f64_e32 v[30:31], v[28:29]
	s_delay_alu instid0(VALU_DEP_1) | instskip(SKIP_1) | instid1(VALU_DEP_1)
	v_cmp_gt_f64_e32 vcc_lo, s[6:7], v[30:31]
	v_cndmask_b32_e64 v32, 0, 1, vcc_lo
	v_ldexp_f64 v[30:31], v[30:31], v32
	s_delay_alu instid0(VALU_DEP_1) | instskip(SKIP_1) | instid1(VALU_DEP_2)
	v_add_f64_e32 v[32:33], 1.0, v[30:31]
	v_add_f64_e32 v[38:39], -1.0, v[30:31]
	v_rcp_f64_e32 v[34:35], v[32:33]
	v_add_f64_e32 v[40:41], -1.0, v[32:33]
	s_delay_alu instid0(VALU_DEP_1) | instskip(NEXT) | instid1(TRANS32_DEP_1)
	v_add_f64_e64 v[30:31], v[30:31], -v[40:41]
	v_fma_f64 v[36:37], -v[32:33], v[34:35], 1.0
	s_delay_alu instid0(VALU_DEP_1) | instskip(NEXT) | instid1(VALU_DEP_1)
	v_fmac_f64_e32 v[34:35], v[36:37], v[34:35]
	v_fma_f64 v[36:37], -v[32:33], v[34:35], 1.0
	s_delay_alu instid0(VALU_DEP_1) | instskip(NEXT) | instid1(VALU_DEP_1)
	v_fmac_f64_e32 v[34:35], v[36:37], v[34:35]
	v_mul_f64_e32 v[36:37], v[38:39], v[34:35]
	s_delay_alu instid0(VALU_DEP_1) | instskip(NEXT) | instid1(VALU_DEP_1)
	v_mul_f64_e32 v[42:43], v[32:33], v[36:37]
	v_fma_f64 v[32:33], v[36:37], v[32:33], -v[42:43]
	s_delay_alu instid0(VALU_DEP_1) | instskip(NEXT) | instid1(VALU_DEP_1)
	v_fmac_f64_e32 v[32:33], v[36:37], v[30:31]
	v_add_f64_e32 v[30:31], v[42:43], v[32:33]
	s_delay_alu instid0(VALU_DEP_1) | instskip(SKIP_1) | instid1(VALU_DEP_2)
	v_add_f64_e64 v[40:41], v[38:39], -v[30:31]
	v_add_f64_e64 v[42:43], v[30:31], -v[42:43]
	v_add_f64_e64 v[38:39], v[38:39], -v[40:41]
	s_delay_alu instid0(VALU_DEP_2) | instskip(SKIP_1) | instid1(VALU_DEP_3)
	v_add_f64_e64 v[32:33], v[42:43], -v[32:33]
	v_frexp_exp_i32_f64_e32 v42, v[28:29]
	v_add_f64_e64 v[30:31], v[38:39], -v[30:31]
	s_delay_alu instid0(VALU_DEP_1) | instskip(NEXT) | instid1(VALU_DEP_1)
	v_add_f64_e32 v[30:31], v[32:33], v[30:31]
	v_add_f64_e32 v[30:31], v[40:41], v[30:31]
	s_delay_alu instid0(VALU_DEP_1) | instskip(NEXT) | instid1(VALU_DEP_1)
	v_mul_f64_e32 v[30:31], v[34:35], v[30:31]
	v_add_f64_e32 v[32:33], v[36:37], v[30:31]
	s_delay_alu instid0(VALU_DEP_1) | instskip(NEXT) | instid1(VALU_DEP_1)
	v_mul_f64_e32 v[34:35], v[32:33], v[32:33]
	v_fmamk_f64 v[38:39], v[34:35], 0x3fc3ab76bf559e2b, v[12:13]
	v_mul_f64_e32 v[40:41], v[32:33], v[34:35]
	s_delay_alu instid0(VALU_DEP_2) | instskip(NEXT) | instid1(VALU_DEP_1)
	v_fmaak_f64 v[38:39], v[34:35], v[38:39], 0x3fc7474dd7f4df2e
	v_fmaak_f64 v[38:39], v[34:35], v[38:39], 0x3fcc71c016291751
	s_delay_alu instid0(VALU_DEP_1) | instskip(NEXT) | instid1(VALU_DEP_1)
	v_fmaak_f64 v[38:39], v[34:35], v[38:39], 0x3fd249249b27acf1
	v_fmaak_f64 v[38:39], v[34:35], v[38:39], 0x3fd99999998ef7b6
	s_delay_alu instid0(VALU_DEP_1) | instskip(SKIP_2) | instid1(VALU_DEP_3)
	v_fmaak_f64 v[34:35], v[34:35], v[38:39], 0x3fe5555555555780
	v_ldexp_f64 v[38:39], v[32:33], 1
	v_add_f64_e64 v[32:33], v[32:33], -v[36:37]
	v_mul_f64_e32 v[34:35], v[40:41], v[34:35]
	v_subrev_co_ci_u32_e64 v40, null, 0, v42, vcc_lo
	v_cmp_class_f64_e64 vcc_lo, v[28:29], 0x204
	s_delay_alu instid0(VALU_DEP_2) | instskip(SKIP_2) | instid1(VALU_DEP_3)
	v_cvt_f64_i32_e32 v[40:41], v40
	v_add_f64_e64 v[30:31], v[30:31], -v[32:33]
	v_add_f64_e32 v[36:37], v[38:39], v[34:35]
	v_mul_f64_e32 v[42:43], 0x3fe62e42fefa39ef, v[40:41]
	s_delay_alu instid0(VALU_DEP_3) | instskip(NEXT) | instid1(VALU_DEP_3)
	v_ldexp_f64 v[30:31], v[30:31], 1
	v_add_f64_e64 v[32:33], v[36:37], -v[38:39]
	s_delay_alu instid0(VALU_DEP_3) | instskip(NEXT) | instid1(VALU_DEP_2)
	v_fma_f64 v[38:39], v[40:41], s[16:17], -v[42:43]
	v_add_f64_e64 v[32:33], v[34:35], -v[32:33]
	s_delay_alu instid0(VALU_DEP_2) | instskip(NEXT) | instid1(VALU_DEP_2)
	v_fmac_f64_e32 v[38:39], 0x3c7abc9e3b39803f, v[40:41]
	v_add_f64_e32 v[30:31], v[30:31], v[32:33]
	s_delay_alu instid0(VALU_DEP_2) | instskip(NEXT) | instid1(VALU_DEP_2)
	v_add_f64_e32 v[32:33], v[42:43], v[38:39]
	v_add_f64_e32 v[34:35], v[36:37], v[30:31]
	s_delay_alu instid0(VALU_DEP_2) | instskip(NEXT) | instid1(VALU_DEP_2)
	v_add_f64_e64 v[42:43], v[32:33], -v[42:43]
	v_add_f64_e32 v[40:41], v[32:33], v[34:35]
	v_add_f64_e64 v[36:37], v[34:35], -v[36:37]
	s_delay_alu instid0(VALU_DEP_3) | instskip(NEXT) | instid1(VALU_DEP_3)
	v_add_f64_e64 v[38:39], v[38:39], -v[42:43]
	v_add_f64_e64 v[44:45], v[40:41], -v[32:33]
	s_delay_alu instid0(VALU_DEP_3) | instskip(NEXT) | instid1(VALU_DEP_2)
	v_add_f64_e64 v[30:31], v[30:31], -v[36:37]
	v_add_f64_e64 v[46:47], v[40:41], -v[44:45]
	;; [unrolled: 1-line block ×3, first 2 shown]
	s_delay_alu instid0(VALU_DEP_3) | instskip(NEXT) | instid1(VALU_DEP_3)
	v_add_f64_e32 v[36:37], v[38:39], v[30:31]
	v_add_f64_e64 v[32:33], v[32:33], -v[46:47]
	s_delay_alu instid0(VALU_DEP_1) | instskip(NEXT) | instid1(VALU_DEP_3)
	v_add_f64_e32 v[32:33], v[34:35], v[32:33]
	v_add_f64_e64 v[34:35], v[36:37], -v[38:39]
	s_delay_alu instid0(VALU_DEP_2) | instskip(NEXT) | instid1(VALU_DEP_2)
	v_add_f64_e32 v[32:33], v[36:37], v[32:33]
	v_add_f64_e64 v[36:37], v[36:37], -v[34:35]
	v_add_f64_e64 v[30:31], v[30:31], -v[34:35]
	s_delay_alu instid0(VALU_DEP_3) | instskip(NEXT) | instid1(VALU_DEP_3)
	v_add_f64_e32 v[42:43], v[40:41], v[32:33]
	v_add_f64_e64 v[34:35], v[38:39], -v[36:37]
	s_delay_alu instid0(VALU_DEP_2) | instskip(NEXT) | instid1(VALU_DEP_2)
	v_add_f64_e64 v[36:37], v[42:43], -v[40:41]
	v_add_f64_e32 v[30:31], v[30:31], v[34:35]
	s_delay_alu instid0(VALU_DEP_2) | instskip(NEXT) | instid1(VALU_DEP_1)
	v_add_f64_e64 v[32:33], v[32:33], -v[36:37]
	v_add_f64_e32 v[30:31], v[30:31], v[32:33]
	s_delay_alu instid0(VALU_DEP_1) | instskip(NEXT) | instid1(VALU_DEP_1)
	v_add_f64_e32 v[30:31], v[42:43], v[30:31]
	v_dual_cndmask_b32 v30, v30, v28 :: v_dual_cndmask_b32 v31, v31, v29
	v_cmp_ngt_f64_e32 vcc_lo, 0, v[28:29]
	s_delay_alu instid0(VALU_DEP_2) | instskip(SKIP_1) | instid1(VALU_DEP_4)
	v_cndmask_b32_e32 v31, 0x7ff80000, v31, vcc_lo
	v_cmp_nge_f64_e32 vcc_lo, 0, v[28:29]
	v_cndmask_b32_e32 v30, 0, v30, vcc_lo
	v_cmp_neq_f64_e32 vcc_lo, 0, v[28:29]
	s_delay_alu instid0(VALU_DEP_4) | instskip(NEXT) | instid1(VALU_DEP_1)
	v_cndmask_b32_e32 v31, 0xfff00000, v31, vcc_lo
	v_add_f64_e32 v[28:29], v[26:27], v[30:31]
	s_branch .LBB6_3
.LBB6_10:
	v_cmp_lt_i64_e64 s2, s[24:25], 1
	s_and_b32 vcc_lo, exec_lo, s2
	s_cbranch_vccnz .LBB6_15
; %bb.11:
	s_clause 0x2
	s_load_b64 s[2:3], s[0:1], 0x58
	s_load_b128 s[4:7], s[0:1], 0x8
	s_load_b32 s16, s[0:1], 0xe8
	v_mul_u64_e32 v[14:15], s[12:13], v[0:1]
	v_mul_u64_e32 v[16:17], s[10:11], v[2:3]
	s_wait_xcnt 0x0
	s_load_b64 s[0:1], s[0:1], 0x28
	s_wait_kmcnt 0x0
	v_lshl_add_u64 v[10:11], v[0:1], 3, s[2:3]
	v_mul_u64_e32 v[12:13], s[6:7], v[0:1]
	v_lshl_add_u64 v[0:1], v[6:7], 3, v[8:9]
	s_bitcmp1_b32 s16, 0
	global_load_b64 v[10:11], v[10:11], off
	v_lshl_add_u64 v[6:7], v[14:15], 3, s[0:1]
	s_wait_loadcnt 0x1
	v_cmp_lt_i64_e64 s0, v[2:3], v[4:5]
	s_cselect_b32 s1, -1, 0
	v_mov_b64_e32 v[2:3], 0x3e928af3fca7ab0c
	s_xor_b32 s1, s1, -1
	v_lshl_add_u64 v[4:5], v[16:17], 3, v[6:7]
	s_lshl_b64 s[6:7], s[8:9], 3
                                        ; implicit-def: $vgpr6_vgpr7
                                        ; implicit-def: $vgpr6_vgpr7
	;; [unrolled: 1-line block ×8, first 2 shown]
	v_lshl_add_u64 v[12:13], v[12:13], 3, s[4:5]
	s_lshl_b64 s[4:5], s[14:15], 3
	global_load_b64 v[12:13], v[12:13], off
	s_wait_loadcnt 0x1
	v_cmp_neq_f64_e32 vcc_lo, 0x7ff00000, v[10:11]
	s_or_b32 s1, s1, vcc_lo
	s_delay_alu instid0(SALU_CYCLE_1)
	s_and_b32 s3, s0, s1
	s_branch .LBB6_13
.LBB6_12:                               ;   in Loop: Header=BB6_13 Depth=1
	s_wait_xcnt 0x0
	s_or_b32 exec_lo, exec_lo, s8
	global_store_b64 v[0:1], v[6:7], off
	v_add_nc_u64_e32 v[4:5], s[4:5], v[4:5]
	s_wait_xcnt 0x0
	v_add_nc_u64_e32 v[0:1], s[6:7], v[0:1]
	s_add_nc_u64 s[24:25], s[24:25], -1
	s_delay_alu instid0(SALU_CYCLE_1)
	s_cmp_lg_u64 s[24:25], 0
	s_cbranch_scc0 .LBB6_15
.LBB6_13:                               ; =>This Inner Loop Header: Depth=1
	v_mov_b64_e32 v[6:7], 0
	s_wait_xcnt 0x0
	s_and_saveexec_b32 s8, s3
	s_cbranch_execz .LBB6_12
; %bb.14:                               ;   in Loop: Header=BB6_13 Depth=1
	global_load_b64 v[6:7], v[0:1], off
	global_load_b64 v[8:9], v[4:5], off
	s_wait_loadcnt 0x1
	v_add_f64_e32 v[6:7], v[10:11], v[6:7]
	s_wait_loadcnt 0x0
	v_mul_f64_e32 v[14:15], 0x3ff71547652b82fe, v[8:9]
	v_cmp_nlt_f64_e32 vcc_lo, 0x40900000, v[8:9]
	v_cmp_ngt_f64_e64 s0, 0xc090cc00, v[8:9]
	s_delay_alu instid0(VALU_DEP_4) | instskip(NEXT) | instid1(VALU_DEP_4)
	v_add_f64_e64 v[6:7], v[6:7], -v[8:9]
	v_rndne_f64_e32 v[14:15], v[14:15]
	s_delay_alu instid0(VALU_DEP_2) | instskip(NEXT) | instid1(VALU_DEP_2)
	v_mul_f64_e32 v[16:17], 0x3ff71547652b82fe, v[6:7]
	v_fmamk_f64 v[18:19], v[14:15], 0xbfe62e42fefa39ef, v[8:9]
	v_cvt_i32_f64_e32 v26, v[14:15]
	v_cmp_nlt_f64_e64 s1, 0x40900000, v[6:7]
	v_cmp_ngt_f64_e64 s2, 0xc090cc00, v[6:7]
	s_delay_alu instid0(VALU_DEP_4) | instskip(SKIP_1) | instid1(VALU_DEP_2)
	v_fmac_f64_e32 v[18:19], 0xbc7abc9e3b39803f, v[14:15]
	v_rndne_f64_e32 v[16:17], v[16:17]
	v_fmamk_f64 v[22:23], v[18:19], 0x3e5ade156a5dcb37, v[2:3]
	s_delay_alu instid0(VALU_DEP_1) | instskip(NEXT) | instid1(VALU_DEP_1)
	v_fmaak_f64 v[22:23], v[18:19], v[22:23], 0x3ec71dee623fde64
	v_fmaak_f64 v[22:23], v[18:19], v[22:23], 0x3efa01997c89e6b0
	s_delay_alu instid0(VALU_DEP_1) | instskip(SKIP_1) | instid1(VALU_DEP_2)
	v_fmaak_f64 v[22:23], v[18:19], v[22:23], 0x3f2a01a014761f6e
	v_fmamk_f64 v[20:21], v[16:17], 0xbfe62e42fefa39ef, v[6:7]
	v_fmaak_f64 v[22:23], v[18:19], v[22:23], 0x3f56c16c1852b7b0
	s_delay_alu instid0(VALU_DEP_2) | instskip(NEXT) | instid1(VALU_DEP_2)
	v_fmac_f64_e32 v[20:21], 0xbc7abc9e3b39803f, v[16:17]
	v_fmaak_f64 v[22:23], v[18:19], v[22:23], 0x3f81111111122322
	s_delay_alu instid0(VALU_DEP_1) | instskip(NEXT) | instid1(VALU_DEP_1)
	v_fmaak_f64 v[22:23], v[18:19], v[22:23], 0x3fa55555555502a1
	v_fmaak_f64 v[22:23], v[18:19], v[22:23], 0x3fc5555555555511
	s_delay_alu instid0(VALU_DEP_1) | instskip(SKIP_1) | instid1(VALU_DEP_2)
	v_fmaak_f64 v[22:23], v[18:19], v[22:23], 0x3fe000000000000b
	v_fmamk_f64 v[24:25], v[20:21], 0x3e5ade156a5dcb37, v[2:3]
	v_fma_f64 v[22:23], v[18:19], v[22:23], 1.0
	s_delay_alu instid0(VALU_DEP_2) | instskip(NEXT) | instid1(VALU_DEP_1)
	v_fmaak_f64 v[24:25], v[20:21], v[24:25], 0x3ec71dee623fde64
	v_fmaak_f64 v[24:25], v[20:21], v[24:25], 0x3efa01997c89e6b0
	s_delay_alu instid0(VALU_DEP_1) | instskip(NEXT) | instid1(VALU_DEP_1)
	v_fmaak_f64 v[24:25], v[20:21], v[24:25], 0x3f2a01a014761f6e
	v_fmaak_f64 v[24:25], v[20:21], v[24:25], 0x3f56c16c1852b7b0
	v_fma_f64 v[14:15], v[18:19], v[22:23], 1.0
	v_cvt_i32_f64_e32 v18, v[16:17]
	s_delay_alu instid0(VALU_DEP_3) | instskip(NEXT) | instid1(VALU_DEP_1)
	v_fmaak_f64 v[24:25], v[20:21], v[24:25], 0x3f81111111122322
	v_fmaak_f64 v[24:25], v[20:21], v[24:25], 0x3fa55555555502a1
	s_delay_alu instid0(VALU_DEP_1) | instskip(NEXT) | instid1(VALU_DEP_1)
	v_fmaak_f64 v[24:25], v[20:21], v[24:25], 0x3fc5555555555511
	v_fmaak_f64 v[24:25], v[20:21], v[24:25], 0x3fe000000000000b
	s_delay_alu instid0(VALU_DEP_1) | instskip(SKIP_1) | instid1(VALU_DEP_2)
	v_fma_f64 v[24:25], v[20:21], v[24:25], 1.0
	v_ldexp_f64 v[14:15], v[14:15], v26
	v_fma_f64 v[16:17], v[20:21], v[24:25], 1.0
	s_delay_alu instid0(VALU_DEP_2) | instskip(SKIP_1) | instid1(VALU_DEP_3)
	v_cndmask_b32_e32 v15, 0x7ff00000, v15, vcc_lo
	s_and_b32 vcc_lo, s0, vcc_lo
	v_cndmask_b32_e32 v6, 0, v14, vcc_lo
	s_and_b32 vcc_lo, s2, s1
	s_delay_alu instid0(VALU_DEP_2) | instskip(NEXT) | instid1(VALU_DEP_4)
	v_cndmask_b32_e64 v7, 0, v15, s0
	v_ldexp_f64 v[16:17], v[16:17], v18
	s_delay_alu instid0(VALU_DEP_1) | instskip(NEXT) | instid1(VALU_DEP_1)
	v_cndmask_b32_e64 v8, 0x7ff00000, v17, s1
	v_cndmask_b32_e64 v9, 0, v8, s2
	s_delay_alu instid0(VALU_DEP_3) | instskip(NEXT) | instid1(VALU_DEP_1)
	v_cndmask_b32_e32 v8, 0, v16, vcc_lo
	v_add_f64_e64 v[6:7], v[6:7], -v[8:9]
	s_delay_alu instid0(VALU_DEP_1)
	v_mul_f64_e32 v[6:7], v[12:13], v[6:7]
	s_branch .LBB6_12
.LBB6_15:
	s_endpgm
	.section	.rodata,"a",@progbits
	.p2align	6, 0x0
	.amdhsa_kernel _ZN2at6native12_GLOBAL__N_136ctc_loss_backward_collect_gpu_kernelIdlEEvPT_PKS3_lS6_S6_S6_PKllPKT0_S8_lS6_llllllllllllS8_llllb
		.amdhsa_group_segment_fixed_size 0
		.amdhsa_private_segment_fixed_size 0
		.amdhsa_kernarg_size 496
		.amdhsa_user_sgpr_count 2
		.amdhsa_user_sgpr_dispatch_ptr 0
		.amdhsa_user_sgpr_queue_ptr 0
		.amdhsa_user_sgpr_kernarg_segment_ptr 1
		.amdhsa_user_sgpr_dispatch_id 0
		.amdhsa_user_sgpr_kernarg_preload_length 0
		.amdhsa_user_sgpr_kernarg_preload_offset 0
		.amdhsa_user_sgpr_private_segment_size 0
		.amdhsa_wavefront_size32 1
		.amdhsa_uses_dynamic_stack 0
		.amdhsa_enable_private_segment 0
		.amdhsa_system_sgpr_workgroup_id_x 1
		.amdhsa_system_sgpr_workgroup_id_y 1
		.amdhsa_system_sgpr_workgroup_id_z 0
		.amdhsa_system_sgpr_workgroup_info 0
		.amdhsa_system_vgpr_workitem_id 1
		.amdhsa_next_free_vgpr 48
		.amdhsa_next_free_sgpr 44
		.amdhsa_named_barrier_count 0
		.amdhsa_reserve_vcc 1
		.amdhsa_float_round_mode_32 0
		.amdhsa_float_round_mode_16_64 0
		.amdhsa_float_denorm_mode_32 3
		.amdhsa_float_denorm_mode_16_64 3
		.amdhsa_fp16_overflow 0
		.amdhsa_memory_ordered 1
		.amdhsa_forward_progress 1
		.amdhsa_inst_pref_size 22
		.amdhsa_round_robin_scheduling 0
		.amdhsa_exception_fp_ieee_invalid_op 0
		.amdhsa_exception_fp_denorm_src 0
		.amdhsa_exception_fp_ieee_div_zero 0
		.amdhsa_exception_fp_ieee_overflow 0
		.amdhsa_exception_fp_ieee_underflow 0
		.amdhsa_exception_fp_ieee_inexact 0
		.amdhsa_exception_int_div_zero 0
	.end_amdhsa_kernel
	.section	.text._ZN2at6native12_GLOBAL__N_136ctc_loss_backward_collect_gpu_kernelIdlEEvPT_PKS3_lS6_S6_S6_PKllPKT0_S8_lS6_llllllllllllS8_llllb,"axG",@progbits,_ZN2at6native12_GLOBAL__N_136ctc_loss_backward_collect_gpu_kernelIdlEEvPT_PKS3_lS6_S6_S6_PKllPKT0_S8_lS6_llllllllllllS8_llllb,comdat
.Lfunc_end6:
	.size	_ZN2at6native12_GLOBAL__N_136ctc_loss_backward_collect_gpu_kernelIdlEEvPT_PKS3_lS6_S6_S6_PKllPKT0_S8_lS6_llllllllllllS8_llllb, .Lfunc_end6-_ZN2at6native12_GLOBAL__N_136ctc_loss_backward_collect_gpu_kernelIdlEEvPT_PKS3_lS6_S6_S6_PKllPKT0_S8_lS6_llllllllllllS8_llllb
                                        ; -- End function
	.set _ZN2at6native12_GLOBAL__N_136ctc_loss_backward_collect_gpu_kernelIdlEEvPT_PKS3_lS6_S6_S6_PKllPKT0_S8_lS6_llllllllllllS8_llllb.num_vgpr, 48
	.set _ZN2at6native12_GLOBAL__N_136ctc_loss_backward_collect_gpu_kernelIdlEEvPT_PKS3_lS6_S6_S6_PKllPKT0_S8_lS6_llllllllllllS8_llllb.num_agpr, 0
	.set _ZN2at6native12_GLOBAL__N_136ctc_loss_backward_collect_gpu_kernelIdlEEvPT_PKS3_lS6_S6_S6_PKllPKT0_S8_lS6_llllllllllllS8_llllb.numbered_sgpr, 44
	.set _ZN2at6native12_GLOBAL__N_136ctc_loss_backward_collect_gpu_kernelIdlEEvPT_PKS3_lS6_S6_S6_PKllPKT0_S8_lS6_llllllllllllS8_llllb.num_named_barrier, 0
	.set _ZN2at6native12_GLOBAL__N_136ctc_loss_backward_collect_gpu_kernelIdlEEvPT_PKS3_lS6_S6_S6_PKllPKT0_S8_lS6_llllllllllllS8_llllb.private_seg_size, 0
	.set _ZN2at6native12_GLOBAL__N_136ctc_loss_backward_collect_gpu_kernelIdlEEvPT_PKS3_lS6_S6_S6_PKllPKT0_S8_lS6_llllllllllllS8_llllb.uses_vcc, 1
	.set _ZN2at6native12_GLOBAL__N_136ctc_loss_backward_collect_gpu_kernelIdlEEvPT_PKS3_lS6_S6_S6_PKllPKT0_S8_lS6_llllllllllllS8_llllb.uses_flat_scratch, 0
	.set _ZN2at6native12_GLOBAL__N_136ctc_loss_backward_collect_gpu_kernelIdlEEvPT_PKS3_lS6_S6_S6_PKllPKT0_S8_lS6_llllllllllllS8_llllb.has_dyn_sized_stack, 0
	.set _ZN2at6native12_GLOBAL__N_136ctc_loss_backward_collect_gpu_kernelIdlEEvPT_PKS3_lS6_S6_S6_PKllPKT0_S8_lS6_llllllllllllS8_llllb.has_recursion, 0
	.set _ZN2at6native12_GLOBAL__N_136ctc_loss_backward_collect_gpu_kernelIdlEEvPT_PKS3_lS6_S6_S6_PKllPKT0_S8_lS6_llllllllllllS8_llllb.has_indirect_call, 0
	.section	.AMDGPU.csdata,"",@progbits
; Kernel info:
; codeLenInByte = 2816
; TotalNumSgprs: 46
; NumVgprs: 48
; ScratchSize: 0
; MemoryBound: 0
; FloatMode: 240
; IeeeMode: 1
; LDSByteSize: 0 bytes/workgroup (compile time only)
; SGPRBlocks: 0
; VGPRBlocks: 2
; NumSGPRsForWavesPerEU: 46
; NumVGPRsForWavesPerEU: 48
; NamedBarCnt: 0
; Occupancy: 16
; WaveLimiterHint : 1
; COMPUTE_PGM_RSRC2:SCRATCH_EN: 0
; COMPUTE_PGM_RSRC2:USER_SGPR: 2
; COMPUTE_PGM_RSRC2:TRAP_HANDLER: 0
; COMPUTE_PGM_RSRC2:TGID_X_EN: 1
; COMPUTE_PGM_RSRC2:TGID_Y_EN: 1
; COMPUTE_PGM_RSRC2:TGID_Z_EN: 0
; COMPUTE_PGM_RSRC2:TIDIG_COMP_CNT: 1
	.section	.text._ZN2at6native12_GLOBAL__N_130ctc_loss_zero_padded_gradientsIdEEvPT_PKlllllll,"axG",@progbits,_ZN2at6native12_GLOBAL__N_130ctc_loss_zero_padded_gradientsIdEEvPT_PKlllllll,comdat
	.globl	_ZN2at6native12_GLOBAL__N_130ctc_loss_zero_padded_gradientsIdEEvPT_PKlllllll ; -- Begin function _ZN2at6native12_GLOBAL__N_130ctc_loss_zero_padded_gradientsIdEEvPT_PKlllllll
	.p2align	8
	.type	_ZN2at6native12_GLOBAL__N_130ctc_loss_zero_padded_gradientsIdEEvPT_PKlllllll,@function
_ZN2at6native12_GLOBAL__N_130ctc_loss_zero_padded_gradientsIdEEvPT_PKlllllll: ; @_ZN2at6native12_GLOBAL__N_130ctc_loss_zero_padded_gradientsIdEEvPT_PKlllllll
; %bb.0:
	s_clause 0x1
	s_load_b32 s2, s[0:1], 0x4c
	s_load_b128 s[12:15], s[0:1], 0x30
	s_bfe_u32 s16, ttmp6, 0x4000c
	s_bfe_u32 s17, ttmp6, 0x40010
	v_mov_b32_e32 v1, 0
	s_load_b256 s[4:11], s[0:1], 0x10
	s_add_co_i32 s16, s16, 1
	s_add_co_i32 s17, s17, 1
	s_and_b32 s3, ttmp6, 15
	s_bfe_u32 s18, ttmp6, 0x40004
	s_mul_i32 s16, ttmp9, s16
	s_mul_i32 s17, ttmp7, s17
	s_getreg_b32 s19, hwreg(HW_REG_IB_STS2, 6, 4)
	v_bfe_u32 v4, v0, 10, 10
	v_and_b32_e32 v2, 0x3ff, v0
	v_mov_b32_e32 v3, v1
	s_add_co_i32 s3, s3, s16
	s_add_co_i32 s18, s18, s17
	s_wait_kmcnt 0x0
	s_lshr_b32 s16, s2, 16
	s_and_b32 s2, s2, 0xffff
	s_cmp_eq_u32 s19, 0
	s_cselect_b32 s17, ttmp7, s18
	s_cselect_b32 s3, ttmp9, s3
	v_mad_u32 v0, s17, s16, v4
	v_mad_nc_u64_u32 v[2:3], s2, s3, v[2:3]
	s_delay_alu instid0(VALU_DEP_2) | instskip(NEXT) | instid1(VALU_DEP_2)
	v_cmp_gt_i64_e32 vcc_lo, s[12:13], v[0:1]
	v_cmp_gt_i64_e64 s2, s[10:11], v[2:3]
	s_and_b32 s2, vcc_lo, s2
	s_delay_alu instid0(SALU_CYCLE_1)
	s_and_saveexec_b32 s3, s2
	s_cbranch_execz .LBB7_4
; %bb.1:
	s_load_b64 s[2:3], s[0:1], 0x8
	v_cvt_f64_u32_e32 v[8:9], v3
	v_cvt_f64_u32_e32 v[10:11], v2
	v_cmp_gt_i64_e64 s10, s[14:15], 0
	s_wait_kmcnt 0x0
	v_lshl_add_u64 v[4:5], v[0:1], 3, s[2:3]
	s_mov_b64 s[2:3], 0
	global_load_b64 v[4:5], v[4:5], off
	v_ldexp_f64 v[8:9], v[8:9], 32
	s_wait_loadcnt 0x0
	v_cvt_f64_i32_e32 v[6:7], v5
	v_cvt_f64_u32_e32 v[4:5], v4
	s_delay_alu instid0(VALU_DEP_2) | instskip(NEXT) | instid1(VALU_DEP_1)
	v_ldexp_f64 v[6:7], v[6:7], 32
	v_add_f64_e32 v[4:5], v[6:7], v[4:5]
	v_add_f64_e32 v[6:7], v[8:9], v[10:11]
	s_delay_alu instid0(VALU_DEP_1) | instskip(SKIP_1) | instid1(SALU_CYCLE_1)
	v_cmp_ge_f64_e32 vcc_lo, v[6:7], v[4:5]
	s_and_b32 s10, vcc_lo, s10
	s_and_b32 exec_lo, exec_lo, s10
	s_cbranch_execz .LBB7_4
; %bb.2:
	v_mul_u64_e32 v[2:3], s[4:5], v[2:3]
	v_mul_u64_e32 v[4:5], s[6:7], v[0:1]
	s_load_b64 s[0:1], s[0:1], 0x0
	v_mov_b64_e32 v[0:1], 0
	s_wait_kmcnt 0x0
	s_delay_alu instid0(VALU_DEP_3) | instskip(SKIP_1) | instid1(VALU_DEP_1)
	v_lshl_add_u64 v[2:3], v[2:3], 3, s[0:1]
	s_lshl_b64 s[0:1], s[8:9], 3
	v_lshl_add_u64 v[2:3], v[4:5], 3, v[2:3]
.LBB7_3:                                ; =>This Inner Loop Header: Depth=1
	s_add_nc_u64 s[2:3], s[2:3], 1
	global_store_b64 v[2:3], v[0:1], off
	v_cmp_gt_i64_e64 s4, s[14:15], s[2:3]
	s_wait_xcnt 0x0
	v_add_nc_u64_e32 v[2:3], s[0:1], v[2:3]
	s_and_b32 vcc_lo, exec_lo, s4
	s_cbranch_vccnz .LBB7_3
.LBB7_4:
	s_endpgm
	.section	.rodata,"a",@progbits
	.p2align	6, 0x0
	.amdhsa_kernel _ZN2at6native12_GLOBAL__N_130ctc_loss_zero_padded_gradientsIdEEvPT_PKlllllll
		.amdhsa_group_segment_fixed_size 0
		.amdhsa_private_segment_fixed_size 0
		.amdhsa_kernarg_size 320
		.amdhsa_user_sgpr_count 2
		.amdhsa_user_sgpr_dispatch_ptr 0
		.amdhsa_user_sgpr_queue_ptr 0
		.amdhsa_user_sgpr_kernarg_segment_ptr 1
		.amdhsa_user_sgpr_dispatch_id 0
		.amdhsa_user_sgpr_kernarg_preload_length 0
		.amdhsa_user_sgpr_kernarg_preload_offset 0
		.amdhsa_user_sgpr_private_segment_size 0
		.amdhsa_wavefront_size32 1
		.amdhsa_uses_dynamic_stack 0
		.amdhsa_enable_private_segment 0
		.amdhsa_system_sgpr_workgroup_id_x 1
		.amdhsa_system_sgpr_workgroup_id_y 1
		.amdhsa_system_sgpr_workgroup_id_z 0
		.amdhsa_system_sgpr_workgroup_info 0
		.amdhsa_system_vgpr_workitem_id 1
		.amdhsa_next_free_vgpr 12
		.amdhsa_next_free_sgpr 20
		.amdhsa_named_barrier_count 0
		.amdhsa_reserve_vcc 1
		.amdhsa_float_round_mode_32 0
		.amdhsa_float_round_mode_16_64 0
		.amdhsa_float_denorm_mode_32 3
		.amdhsa_float_denorm_mode_16_64 3
		.amdhsa_fp16_overflow 0
		.amdhsa_memory_ordered 1
		.amdhsa_forward_progress 1
		.amdhsa_inst_pref_size 4
		.amdhsa_round_robin_scheduling 0
		.amdhsa_exception_fp_ieee_invalid_op 0
		.amdhsa_exception_fp_denorm_src 0
		.amdhsa_exception_fp_ieee_div_zero 0
		.amdhsa_exception_fp_ieee_overflow 0
		.amdhsa_exception_fp_ieee_underflow 0
		.amdhsa_exception_fp_ieee_inexact 0
		.amdhsa_exception_int_div_zero 0
	.end_amdhsa_kernel
	.section	.text._ZN2at6native12_GLOBAL__N_130ctc_loss_zero_padded_gradientsIdEEvPT_PKlllllll,"axG",@progbits,_ZN2at6native12_GLOBAL__N_130ctc_loss_zero_padded_gradientsIdEEvPT_PKlllllll,comdat
.Lfunc_end7:
	.size	_ZN2at6native12_GLOBAL__N_130ctc_loss_zero_padded_gradientsIdEEvPT_PKlllllll, .Lfunc_end7-_ZN2at6native12_GLOBAL__N_130ctc_loss_zero_padded_gradientsIdEEvPT_PKlllllll
                                        ; -- End function
	.set _ZN2at6native12_GLOBAL__N_130ctc_loss_zero_padded_gradientsIdEEvPT_PKlllllll.num_vgpr, 12
	.set _ZN2at6native12_GLOBAL__N_130ctc_loss_zero_padded_gradientsIdEEvPT_PKlllllll.num_agpr, 0
	.set _ZN2at6native12_GLOBAL__N_130ctc_loss_zero_padded_gradientsIdEEvPT_PKlllllll.numbered_sgpr, 20
	.set _ZN2at6native12_GLOBAL__N_130ctc_loss_zero_padded_gradientsIdEEvPT_PKlllllll.num_named_barrier, 0
	.set _ZN2at6native12_GLOBAL__N_130ctc_loss_zero_padded_gradientsIdEEvPT_PKlllllll.private_seg_size, 0
	.set _ZN2at6native12_GLOBAL__N_130ctc_loss_zero_padded_gradientsIdEEvPT_PKlllllll.uses_vcc, 1
	.set _ZN2at6native12_GLOBAL__N_130ctc_loss_zero_padded_gradientsIdEEvPT_PKlllllll.uses_flat_scratch, 0
	.set _ZN2at6native12_GLOBAL__N_130ctc_loss_zero_padded_gradientsIdEEvPT_PKlllllll.has_dyn_sized_stack, 0
	.set _ZN2at6native12_GLOBAL__N_130ctc_loss_zero_padded_gradientsIdEEvPT_PKlllllll.has_recursion, 0
	.set _ZN2at6native12_GLOBAL__N_130ctc_loss_zero_padded_gradientsIdEEvPT_PKlllllll.has_indirect_call, 0
	.section	.AMDGPU.csdata,"",@progbits
; Kernel info:
; codeLenInByte = 388
; TotalNumSgprs: 22
; NumVgprs: 12
; ScratchSize: 0
; MemoryBound: 0
; FloatMode: 240
; IeeeMode: 1
; LDSByteSize: 0 bytes/workgroup (compile time only)
; SGPRBlocks: 0
; VGPRBlocks: 0
; NumSGPRsForWavesPerEU: 22
; NumVGPRsForWavesPerEU: 12
; NamedBarCnt: 0
; Occupancy: 16
; WaveLimiterHint : 0
; COMPUTE_PGM_RSRC2:SCRATCH_EN: 0
; COMPUTE_PGM_RSRC2:USER_SGPR: 2
; COMPUTE_PGM_RSRC2:TRAP_HANDLER: 0
; COMPUTE_PGM_RSRC2:TGID_X_EN: 1
; COMPUTE_PGM_RSRC2:TGID_Y_EN: 1
; COMPUTE_PGM_RSRC2:TGID_Z_EN: 0
; COMPUTE_PGM_RSRC2:TIDIG_COMP_CNT: 1
	.section	.text._ZN2at6native12_GLOBAL__N_137ctc_loss_backward_log_beta_gpu_kernelIdiEEvPT_PKS3_PKllPKT0_S8_lllllllS8_lll,"axG",@progbits,_ZN2at6native12_GLOBAL__N_137ctc_loss_backward_log_beta_gpu_kernelIdiEEvPT_PKS3_PKllPKT0_S8_lllllllS8_lll,comdat
	.globl	_ZN2at6native12_GLOBAL__N_137ctc_loss_backward_log_beta_gpu_kernelIdiEEvPT_PKS3_PKllPKT0_S8_lllllllS8_lll ; -- Begin function _ZN2at6native12_GLOBAL__N_137ctc_loss_backward_log_beta_gpu_kernelIdiEEvPT_PKS3_PKllPKT0_S8_lllllllS8_lll
	.p2align	8
	.type	_ZN2at6native12_GLOBAL__N_137ctc_loss_backward_log_beta_gpu_kernelIdiEEvPT_PKS3_PKllPKT0_S8_lllllllS8_lll,@function
_ZN2at6native12_GLOBAL__N_137ctc_loss_backward_log_beta_gpu_kernelIdiEEvPT_PKS3_PKllPKT0_S8_lllllllS8_lll: ; @_ZN2at6native12_GLOBAL__N_137ctc_loss_backward_log_beta_gpu_kernelIdiEEvPT_PKS3_PKllPKT0_S8_lllllllS8_lll
; %bb.0:
	s_clause 0x1
	s_load_u16 s2, s[0:1], 0x96
	s_load_b128 s[20:23], s[0:1], 0x70
	s_bfe_u32 s3, ttmp6, 0x40010
	s_bfe_u32 s4, ttmp6, 0x40004
	s_add_co_i32 s3, s3, 1
	v_bfe_u32 v1, v0, 10, 10
	s_mul_i32 s3, ttmp7, s3
	v_mov_b32_e32 v11, 0
	s_add_co_i32 s4, s4, s3
	s_getreg_b32 s3, hwreg(HW_REG_IB_STS2, 6, 4)
	s_delay_alu instid0(SALU_CYCLE_1) | instskip(SKIP_4) | instid1(VALU_DEP_1)
	s_cmp_eq_u32 s3, 0
	s_cselect_b32 s3, ttmp7, s4
	s_wait_kmcnt 0x0
	v_mad_u32 v10, s3, s2, v1
	s_mov_b32 s2, exec_lo
	v_cmpx_gt_i64_e64 s[22:23], v[10:11]
	s_cbranch_execz .LBB8_43
; %bb.1:
	s_load_b64 s[2:3], s[0:1], 0x10
	s_wait_kmcnt 0x0
	v_lshl_add_u64 v[2:3], v[10:11], 3, s[2:3]
	global_load_b64 v[2:3], v[2:3], off
	s_wait_loadcnt 0x0
	v_cmp_ne_u64_e32 vcc_lo, 0, v[2:3]
	s_and_b32 exec_lo, exec_lo, vcc_lo
	s_cbranch_execz .LBB8_43
; %bb.2:
	s_clause 0x1
	s_load_b64 s[2:3], s[0:1], 0x28
	s_load_b64 s[4:5], s[0:1], 0x68
	v_lshlrev_b64_e32 v[4:5], 3, v[10:11]
	s_mov_b32 s29, 0
	s_wait_kmcnt 0x0
	s_delay_alu instid0(VALU_DEP_1)
	v_add_nc_u64_e32 v[6:7], s[2:3], v[4:5]
	v_add_nc_u64_e32 v[4:5], s[4:5], v[4:5]
	s_load_b256 s[4:11], s[0:1], 0x30
	s_add_nc_u64 s[2:3], s[0:1], 0x88
	global_load_b64 v[16:17], v[6:7], off
	global_load_b64 v[12:13], v[4:5], off
	s_load_b32 s12, s[2:3], 0xc
	s_wait_kmcnt 0x0
	s_lshl_b64 s[22:23], s[4:5], 1
	s_delay_alu instid0(SALU_CYCLE_1)
	s_and_b64 s[2:3], s[22:23], 0xffffffff00000000
	s_and_b32 s28, s12, 0xffff
	s_cmp_lg_u64 s[2:3], 0
	s_cbranch_scc0 .LBB8_44
; %bb.3:
	s_add_nc_u64 s[2:3], s[28:29], 0
	s_mov_b32 s15, s29
	s_xor_b64 s[2:3], s[2:3], 0
	s_mov_b32 s19, s29
	s_cvt_f32_u32 s4, s2
	s_cvt_f32_u32 s5, s3
	s_sub_nc_u64 s[12:13], 0, s[2:3]
	s_delay_alu instid0(SALU_CYCLE_2) | instskip(NEXT) | instid1(SALU_CYCLE_3)
	s_fmamk_f32 s4, s5, 0x4f800000, s4
	v_s_rcp_f32 s4, s4
	s_delay_alu instid0(TRANS32_DEP_1) | instskip(NEXT) | instid1(SALU_CYCLE_3)
	s_mul_f32 s4, s4, 0x5f7ffffc
	s_mul_f32 s5, s4, 0x2f800000
	s_delay_alu instid0(SALU_CYCLE_3) | instskip(NEXT) | instid1(SALU_CYCLE_3)
	s_trunc_f32 s5, s5
	s_fmamk_f32 s4, s5, 0xcf800000, s4
	s_cvt_u32_f32 s5, s5
	s_delay_alu instid0(SALU_CYCLE_2) | instskip(NEXT) | instid1(SALU_CYCLE_3)
	s_cvt_u32_f32 s4, s4
	s_mul_u64 s[16:17], s[12:13], s[4:5]
	s_delay_alu instid0(SALU_CYCLE_1)
	s_mul_hi_u32 s25, s4, s17
	s_mul_i32 s24, s4, s17
	s_mul_hi_u32 s14, s4, s16
	s_mul_i32 s26, s5, s16
	s_add_nc_u64 s[14:15], s[14:15], s[24:25]
	s_mul_hi_u32 s18, s5, s16
	s_mul_hi_u32 s27, s5, s17
	s_add_co_u32 s14, s14, s26
	s_add_co_ci_u32 s18, s15, s18
	s_mul_i32 s16, s5, s17
	s_add_co_ci_u32 s17, s27, 0
	s_delay_alu instid0(SALU_CYCLE_1) | instskip(SKIP_3) | instid1(SALU_CYCLE_1)
	s_add_nc_u64 s[14:15], s[18:19], s[16:17]
	s_mov_b32 s17, s29
	s_add_co_u32 s4, s4, s14
	s_cselect_b32 s14, -1, 0
	s_cmp_lg_u32 s14, 0
	s_add_co_ci_u32 s5, s5, s15
	s_mov_b32 s15, s29
	s_mul_u64 s[12:13], s[12:13], s[4:5]
	s_delay_alu instid0(SALU_CYCLE_1)
	s_mul_hi_u32 s19, s4, s13
	s_mul_i32 s18, s4, s13
	s_mul_hi_u32 s14, s4, s12
	s_mul_i32 s24, s5, s12
	s_add_nc_u64 s[14:15], s[14:15], s[18:19]
	s_mul_hi_u32 s16, s5, s12
	s_mul_hi_u32 s25, s5, s13
	s_mul_i32 s12, s5, s13
	s_add_co_u32 s13, s14, s24
	s_add_co_ci_u32 s16, s15, s16
	s_add_co_ci_u32 s13, s25, 0
	s_mov_b32 s15, s29
	s_add_nc_u64 s[12:13], s[16:17], s[12:13]
	s_delay_alu instid0(SALU_CYCLE_1) | instskip(SKIP_1) | instid1(SALU_CYCLE_1)
	s_add_co_u32 s16, s4, s12
	s_cselect_b32 s4, -1, 0
	s_cmp_lg_u32 s4, 0
	s_add_co_ci_u32 s24, s5, s13
	s_ashr_i32 s4, s23, 31
	s_delay_alu instid0(SALU_CYCLE_1) | instskip(NEXT) | instid1(SALU_CYCLE_1)
	s_mov_b32 s5, s4
	s_add_nc_u64 s[12:13], s[22:23], s[4:5]
	s_delay_alu instid0(SALU_CYCLE_1) | instskip(NEXT) | instid1(SALU_CYCLE_1)
	s_xor_b64 s[12:13], s[12:13], s[4:5]
	s_mul_hi_u32 s19, s12, s24
	s_mul_i32 s18, s12, s24
	s_mul_hi_u32 s14, s12, s16
	s_mul_hi_u32 s26, s13, s16
	s_mul_i32 s16, s13, s16
	s_add_nc_u64 s[14:15], s[14:15], s[18:19]
	s_mul_hi_u32 s25, s13, s24
	s_add_co_u32 s14, s14, s16
	s_add_co_ci_u32 s16, s15, s26
	s_mul_i32 s18, s13, s24
	s_add_co_ci_u32 s19, s25, 0
	s_delay_alu instid0(SALU_CYCLE_1) | instskip(NEXT) | instid1(SALU_CYCLE_1)
	s_add_nc_u64 s[14:15], s[16:17], s[18:19]
	s_and_b64 s[16:17], s[14:15], 0xffffffff00000000
	s_delay_alu instid0(SALU_CYCLE_1) | instskip(NEXT) | instid1(SALU_CYCLE_1)
	s_or_b32 s16, s16, s14
	s_mul_u64 s[14:15], s[2:3], s[16:17]
	s_delay_alu instid0(SALU_CYCLE_1)
	s_sub_co_u32 s12, s12, s14
	s_cselect_b32 s14, -1, 0
	s_sub_co_i32 s16, s13, s15
	s_cmp_lg_u32 s14, 0
	s_sub_co_ci_u32 s16, s16, s3
	s_sub_co_u32 s17, s12, s2
	s_cselect_b32 s18, -1, 0
	s_delay_alu instid0(SALU_CYCLE_1) | instskip(SKIP_1) | instid1(SALU_CYCLE_1)
	s_cmp_lg_u32 s18, 0
	s_sub_co_ci_u32 s19, s16, 0
	s_cmp_ge_u32 s19, s3
	s_cselect_b32 s24, -1, 0
	s_cmp_ge_u32 s17, s2
	s_cselect_b32 s25, -1, 0
	s_cmp_eq_u32 s19, s3
	s_cselect_b32 s24, s25, s24
	s_cmp_lg_u32 s18, 0
	s_sub_co_ci_u32 s16, s16, s3
	s_sub_co_u32 s18, s17, s2
	s_cselect_b32 s25, -1, 0
	s_delay_alu instid0(SALU_CYCLE_1)
	s_cmp_lg_u32 s25, 0
	s_sub_co_ci_u32 s16, s16, 0
	s_cmp_lg_u32 s24, 0
	s_cselect_b32 s17, s18, s17
	s_cselect_b32 s16, s16, s19
	s_cmp_lg_u32 s14, 0
	s_sub_co_ci_u32 s13, s13, s15
	s_delay_alu instid0(SALU_CYCLE_1)
	s_cmp_ge_u32 s13, s3
	s_cselect_b32 s14, -1, 0
	s_cmp_ge_u32 s12, s2
	s_cselect_b32 s2, -1, 0
	s_cmp_eq_u32 s13, s3
	s_cselect_b32 s2, s2, s14
	s_delay_alu instid0(SALU_CYCLE_1) | instskip(SKIP_2) | instid1(SALU_CYCLE_1)
	s_cmp_lg_u32 s2, 0
	s_cselect_b32 s3, s16, s13
	s_cselect_b32 s2, s17, s12
	s_xor_b64 s[2:3], s[2:3], s[4:5]
	s_delay_alu instid0(SALU_CYCLE_1) | instskip(SKIP_1) | instid1(SALU_CYCLE_1)
	s_sub_nc_u64 s[2:3], s[2:3], s[4:5]
	s_mov_b32 s4, s29
	s_and_not1_b32 vcc_lo, exec_lo, s4
	s_cbranch_vccnz .LBB8_5
.LBB8_4:
	v_cvt_f32_u32_e32 v1, s28
	s_sub_co_i32 s3, 0, s28
	s_delay_alu instid0(VALU_DEP_1) | instskip(SKIP_1) | instid1(TRANS32_DEP_1)
	v_rcp_iflag_f32_e32 v1, v1
	v_nop
	v_mul_f32_e32 v1, 0x4f7ffffe, v1
	s_delay_alu instid0(VALU_DEP_1) | instskip(NEXT) | instid1(VALU_DEP_1)
	v_cvt_u32_f32_e32 v1, v1
	v_readfirstlane_b32 s2, v1
	s_mul_i32 s3, s3, s2
	s_delay_alu instid0(SALU_CYCLE_1) | instskip(NEXT) | instid1(SALU_CYCLE_1)
	s_mul_hi_u32 s3, s2, s3
	s_add_co_i32 s2, s2, s3
	s_delay_alu instid0(SALU_CYCLE_1) | instskip(NEXT) | instid1(SALU_CYCLE_1)
	s_mul_hi_u32 s2, s22, s2
	s_mul_i32 s2, s2, s28
	s_delay_alu instid0(SALU_CYCLE_1) | instskip(NEXT) | instid1(SALU_CYCLE_1)
	s_sub_co_i32 s2, s22, s2
	s_sub_co_i32 s3, s2, s28
	s_cmp_ge_u32 s2, s28
	s_cselect_b32 s2, s3, s2
	s_mov_b32 s3, 0
	s_sub_co_i32 s4, s2, s28
	s_cmp_ge_u32 s2, s28
	s_cselect_b32 s2, s4, s2
.LBB8_5:
	s_delay_alu instid0(SALU_CYCLE_1) | instskip(NEXT) | instid1(SALU_CYCLE_1)
	s_sub_nc_u64 s[30:31], s[22:23], s[2:3]
	v_cmp_lt_i64_e64 s4, s[30:31], 0
	s_and_b32 vcc_lo, exec_lo, s4
	s_cbranch_vccnz .LBB8_43
; %bb.6:
	s_load_b256 s[12:19], s[0:1], 0x50
	v_and_b32_e32 v0, 0x3ff, v0
	v_mov_b32_e32 v1, 0
	v_add_nc_u64_e32 v[6:7], -1, v[2:3]
	v_mul_u64_e32 v[22:23], s[8:9], v[10:11]
	s_load_b128 s[24:27], s[0:1], 0x0
	s_delay_alu instid0(VALU_DEP_3) | instskip(NEXT) | instid1(VALU_DEP_3)
	v_add_nc_u64_e32 v[4:5], s[22:23], v[0:1]
	v_mul_u64_e32 v[28:29], s[6:7], v[6:7]
	s_delay_alu instid0(VALU_DEP_2) | instskip(SKIP_4) | instid1(VALU_DEP_3)
	v_sub_nc_u64_e64 v[14:15], v[4:5], s[2:3]
	s_wait_loadcnt 0x1
	v_lshlrev_b64_e32 v[4:5], 1, v[16:17]
	s_wait_kmcnt 0x0
	v_mul_u64_e32 v[24:25], s[12:13], v[10:11]
	v_mul_u64_e32 v[18:19], s[16:17], v[14:15]
	s_delay_alu instid0(VALU_DEP_3)
	v_add_nc_u64_e32 v[8:9], -1, v[4:5]
	v_mul_u64_e32 v[26:27], s[14:15], v[6:7]
	s_clause 0x1
	s_load_b64 s[2:3], s[0:1], 0x20
	s_load_b64 s[12:13], s[0:1], 0x80
	s_mul_u64 s[4:5], s[16:17], s[28:29]
	s_delay_alu instid0(VALU_DEP_2) | instskip(NEXT) | instid1(VALU_DEP_1)
	v_lshrrev_b64 v[10:11], 1, v[8:9]
	v_mul_u64_e32 v[32:33], s[20:21], v[10:11]
	s_wait_loadcnt 0x0
	s_wait_kmcnt 0x0
	v_lshl_add_u64 v[12:13], v[12:13], 2, s[2:3]
	s_mul_u64 s[2:3], s[12:13], s[10:11]
	v_lshlrev_b64_e32 v[10:11], 3, v[24:25]
	v_lshlrev_b64_e32 v[20:21], 3, v[18:19]
	v_sub_nc_u64_e32 v[18:19], v[4:5], v[0:1]
	s_delay_alu instid0(VALU_DEP_2) | instskip(SKIP_1) | instid1(VALU_DEP_2)
	v_lshl_add_u64 v[24:25], v[26:27], 3, v[20:21]
	v_lshl_add_u64 v[26:27], v[22:23], 3, s[26:27]
	v_add_nc_u64_e32 v[30:31], v[24:25], v[10:11]
	s_delay_alu instid0(VALU_DEP_2) | instskip(SKIP_1) | instid1(VALU_DEP_2)
	v_lshl_add_u64 v[24:25], v[28:29], 3, v[26:27]
	v_lshl_add_u64 v[32:33], v[32:33], 2, v[12:13]
	;; [unrolled: 1-line block ×3, first 2 shown]
	s_delay_alu instid0(VALU_DEP_4) | instskip(SKIP_2) | instid1(SALU_CYCLE_1)
	v_add_nc_u64_e32 v[28:29], s[24:25], v[30:31]
	v_add_nc_u64_e32 v[30:31], -1, v[18:19]
	s_lshl_b64 s[2:3], s[4:5], 3
	s_sub_nc_u64 s[18:19], 0, s[2:3]
	s_mov_b64 s[2:3], s[30:31]
	s_branch .LBB8_8
.LBB8_7:                                ;   in Loop: Header=BB8_8 Depth=1
	s_wait_xcnt 0x0
	s_or_b32 exec_lo, exec_lo, s4
	s_sub_nc_u64 s[2:3], s[2:3], s[28:29]
	v_add_nc_u64_e32 v[28:29], s[18:19], v[28:29]
	v_cmp_lt_i64_e64 s4, s[2:3], 0
	s_and_b32 vcc_lo, exec_lo, s4
	s_cbranch_vccnz .LBB8_16
.LBB8_8:                                ; =>This Inner Loop Header: Depth=1
	s_mov_b32 s4, exec_lo
                                        ; implicit-def: $vgpr34_vgpr35
	v_cmpx_ne_u64_e64 s[2:3], v[18:19]
	s_xor_b32 s4, exec_lo, s4
	s_cbranch_execz .LBB8_12
; %bb.9:                                ;   in Loop: Header=BB8_8 Depth=1
	s_wait_loadcnt 0x0
	v_mov_b64_e32 v[34:35], 0xfff0000000000000
	s_mov_b32 s5, exec_lo
	v_cmpx_eq_u64_e64 s[2:3], v[30:31]
	s_cbranch_execz .LBB8_11
; %bb.10:                               ;   in Loop: Header=BB8_8 Depth=1
	global_load_b32 v34, v[32:33], off
	s_wait_loadcnt 0x0
	v_ashrrev_i32_e32 v35, 31, v34
	s_delay_alu instid0(VALU_DEP_1) | instskip(NEXT) | instid1(VALU_DEP_1)
	v_mul_u64_e32 v[34:35], s[10:11], v[34:35]
	v_lshl_add_u64 v[34:35], v[34:35], 3, v[24:25]
	global_load_b64 v[34:35], v[34:35], off
.LBB8_11:                               ;   in Loop: Header=BB8_8 Depth=1
	s_wait_xcnt 0x0
	s_or_b32 exec_lo, exec_lo, s5
.LBB8_12:                               ;   in Loop: Header=BB8_8 Depth=1
	s_and_not1_saveexec_b32 s4, s4
	s_cbranch_execz .LBB8_14
; %bb.13:                               ;   in Loop: Header=BB8_8 Depth=1
	s_wait_loadcnt 0x0
	global_load_b64 v[34:35], v[26:27], off
.LBB8_14:                               ;   in Loop: Header=BB8_8 Depth=1
	s_wait_xcnt 0x0
	s_or_b32 exec_lo, exec_lo, s4
	v_add_nc_u64_e32 v[36:37], s[2:3], v[0:1]
	s_mov_b32 s4, exec_lo
	s_delay_alu instid0(VALU_DEP_1)
	v_cmpx_ge_i64_e64 s[22:23], v[36:37]
	s_cbranch_execz .LBB8_7
; %bb.15:                               ;   in Loop: Header=BB8_8 Depth=1
	s_wait_loadcnt 0x0
	global_store_b64 v[28:29], v[34:35], off
	s_branch .LBB8_7
.LBB8_16:
	s_load_b64 s[2:3], s[0:1], 0x18
	v_add_nc_u64_e32 v[18:19], 2, v[14:15]
	v_lshl_add_u64 v[26:27], v[14:15], 3, 8
	s_lshl_b64 s[8:9], s[14:15], 3
	s_lshl_b64 s[10:11], s[10:11], 3
	s_sub_nc_u64 s[34:35], 0, s[8:9]
                                        ; implicit-def: $vgpr28_vgpr29
                                        ; implicit-def: $vgpr28_vgpr29
	;; [unrolled: 1-line block ×13, first 2 shown]
	s_delay_alu instid0(VALU_DEP_2)
	v_mul_u64_e32 v[24:25], s[16:17], v[18:19]
	s_wait_kmcnt 0x0
	s_add_nc_u64 s[0:1], s[2:3], -1
	s_add_nc_u64 s[36:37], s[2:3], -2
	s_mul_u64 s[0:1], s[14:15], s[0:1]
	s_mul_u64 s[8:9], s[14:15], s[36:37]
	s_lshl_b64 s[0:1], s[0:1], 3
	s_mul_u64 s[14:15], s[6:7], s[36:37]
	s_add_nc_u64 s[4:5], s[24:25], s[0:1]
	s_lshl_b64 s[8:9], s[8:9], 3
	v_mad_nc_u64_u32 v[14:15], s16, v26, s[4:5]
	s_lshl_b64 s[14:15], s[14:15], 3
	s_add_nc_u64 s[8:9], s[24:25], s[8:9]
	v_cmp_lt_i64_e64 s0, 0, v[16:17]
	v_cmp_ne_u64_e64 s1, 0, v[16:17]
	v_mov_b64_e32 v[16:17], 0x3e928af3fca7ab0c
	s_add_nc_u64 s[14:15], s[26:27], s[14:15]
	v_add_nc_u64_e32 v[18:19], s[8:9], v[20:21]
	v_add_nc_u64_e32 v[20:21], s[4:5], v[20:21]
	v_cmp_gt_i64_e64 s9, s[2:3], 1
	v_lshl_add_u64 v[22:23], v[22:23], 3, s[14:15]
	v_mad_u32 v15, s17, v26, v15
	v_lshl_add_u64 v[24:25], v[24:25], 3, s[4:5]
	s_lshl_b64 s[2:3], s[6:7], 3
	s_mov_b64 s[14:15], 0x3fe5555555555555
	s_sub_nc_u64 s[24:25], 0, s[2:3]
	s_delay_alu instid0(VALU_DEP_2)
	v_mad_u32 v15, s16, v27, v15
	v_mov_b64_e32 v[26:27], 0x3fc385386b47b09a
	s_mov_b64 s[16:17], 0x3fe62e42fefa39ef
	s_branch .LBB8_18
.LBB8_17:                               ;   in Loop: Header=BB8_18 Depth=1
	s_sub_nc_u64 s[30:31], s[30:31], s[28:29]
	v_add_nc_u64_e32 v[18:19], s[18:19], v[18:19]
	v_cmp_lt_i64_e64 s2, s[30:31], 0
	v_add_nc_u64_e32 v[14:15], s[18:19], v[14:15]
	v_add_nc_u64_e32 v[20:21], s[18:19], v[20:21]
	;; [unrolled: 1-line block ×3, first 2 shown]
	s_and_b32 vcc_lo, exec_lo, s2
	s_cbranch_vccnz .LBB8_43
.LBB8_18:                               ; =>This Loop Header: Depth=1
                                        ;     Child Loop BB8_29 Depth 2
	v_add_nc_u64_e32 v[30:31], s[30:31], v[0:1]
	v_mov_b64_e32 v[32:33], s[12:13]
	s_mov_b32 s33, 0
	s_delay_alu instid0(VALU_DEP_2) | instskip(SKIP_1) | instid1(SALU_CYCLE_1)
	v_cmp_le_i64_e64 s3, v[30:31], v[4:5]
	s_and_b32 s2, s0, s3
	s_and_saveexec_b32 s4, s2
	s_cbranch_execz .LBB8_26
; %bb.19:                               ;   in Loop: Header=BB8_18 Depth=1
	v_and_b32_e32 v28, 1, v30
	v_mov_b64_e32 v[32:33], s[12:13]
	s_delay_alu instid0(VALU_DEP_2)
	v_cmp_eq_u32_e32 vcc_lo, 1, v28
	s_and_saveexec_b32 s2, vcc_lo
	s_cbranch_execz .LBB8_21
; %bb.20:                               ;   in Loop: Header=BB8_18 Depth=1
	v_lshrrev_b64 v[28:29], 1, v[30:31]
	s_delay_alu instid0(VALU_DEP_1) | instskip(NEXT) | instid1(VALU_DEP_1)
	v_mul_u64_e32 v[28:29], s[20:21], v[28:29]
	v_lshl_add_u64 v[28:29], v[28:29], 2, v[12:13]
	global_load_b32 v32, v[28:29], off
	s_wait_loadcnt 0x0
	v_ashrrev_i32_e32 v33, 31, v32
.LBB8_21:                               ;   in Loop: Header=BB8_18 Depth=1
	s_wait_xcnt 0x0
	s_or_b32 exec_lo, exec_lo, s2
	s_mov_b32 s6, 0
	s_mov_b32 s5, exec_lo
	v_cmpx_lt_i64_e64 v[30:31], v[8:9]
	s_cbranch_execz .LBB8_25
; %bb.22:                               ;   in Loop: Header=BB8_18 Depth=1
	v_mov_b64_e32 v[28:29], s[12:13]
	s_and_saveexec_b32 s2, vcc_lo
	s_cbranch_execz .LBB8_24
; %bb.23:                               ;   in Loop: Header=BB8_18 Depth=1
	v_add_nc_u64_e32 v[28:29], 2, v[30:31]
	s_delay_alu instid0(VALU_DEP_1) | instskip(NEXT) | instid1(VALU_DEP_1)
	v_lshrrev_b64 v[28:29], 1, v[28:29]
	v_mul_u64_e32 v[28:29], s[20:21], v[28:29]
	s_delay_alu instid0(VALU_DEP_1)
	v_lshl_add_u64 v[28:29], v[28:29], 2, v[12:13]
	global_load_b32 v28, v[28:29], off
	s_wait_loadcnt 0x0
	v_ashrrev_i32_e32 v29, 31, v28
.LBB8_24:                               ;   in Loop: Header=BB8_18 Depth=1
	s_or_b32 exec_lo, exec_lo, s2
	s_delay_alu instid0(VALU_DEP_1)
	v_cmp_ne_u64_e32 vcc_lo, v[28:29], v[32:33]
	s_and_b32 s6, vcc_lo, exec_lo
.LBB8_25:                               ;   in Loop: Header=BB8_18 Depth=1
	s_or_b32 exec_lo, exec_lo, s5
	s_delay_alu instid0(SALU_CYCLE_1)
	s_and_b32 s33, s6, exec_lo
.LBB8_26:                               ;   in Loop: Header=BB8_18 Depth=1
	s_or_b32 exec_lo, exec_lo, s4
	s_delay_alu instid0(SALU_CYCLE_1)
	s_and_not1_b32 vcc_lo, exec_lo, s9
	s_cbranch_vccnz .LBB8_17
; %bb.27:                               ;   in Loop: Header=BB8_18 Depth=1
	v_mad_nc_u64_u32 v[28:29], s10, v32, v[22:23]
	v_cmp_gt_i64_e64 s2, 1, v[30:31]
	v_cmp_lt_i64_e32 vcc_lo, s[22:23], v[30:31]
	s_wait_loadcnt 0x0
	v_mov_b64_e32 v[34:35], v[14:15]
	v_mov_b64_e32 v[36:37], v[18:19]
	s_xor_b32 s39, s3, -1
	s_mov_b64 s[26:27], s[36:37]
	s_or_b32 s4, s1, s2
	v_cmp_lt_i64_e64 s2, v[30:31], v[4:5]
	v_mov_b64_e32 v[30:31], v[24:25]
	v_mad_u32 v29, s11, v32, v29
	s_and_b32 s38, s4, s3
	s_delay_alu instid0(VALU_DEP_1)
	v_mad_u32 v29, s10, v33, v29
	v_mov_b64_e32 v[32:33], v[20:21]
	s_branch .LBB8_29
.LBB8_28:                               ;   in Loop: Header=BB8_29 Depth=2
	s_wait_xcnt 0x0
	s_or_b32 exec_lo, exec_lo, s3
	v_add_nc_u64_e32 v[36:37], s[34:35], v[36:37]
	v_add_nc_u64_e32 v[34:35], s[34:35], v[34:35]
	;; [unrolled: 1-line block ×5, first 2 shown]
	s_add_nc_u64 s[26:27], s[26:27], -1
	s_delay_alu instid0(SALU_CYCLE_1)
	s_cmp_eq_u64 s[26:27], -1
	s_cbranch_scc1 .LBB8_17
.LBB8_29:                               ;   Parent Loop BB8_18 Depth=1
                                        ; =>  This Inner Loop Header: Depth=2
	v_cmp_ge_i64_e64 s3, s[26:27], v[6:7]
	s_mov_b32 s40, 0
	s_wait_storecnt 0x0
	s_barrier_signal -1
	s_barrier_wait -1
	s_or_b32 s3, s39, s3
	s_delay_alu instid0(SALU_CYCLE_1) | instskip(NEXT) | instid1(SALU_CYCLE_1)
	s_and_saveexec_b32 s4, s3
	s_xor_b32 s4, exec_lo, s4
	s_cbranch_execnz .LBB8_32
; %bb.30:                               ;   in Loop: Header=BB8_29 Depth=2
	s_or_saveexec_b32 s41, s4
	v_mov_b64_e32 v[38:39], 0xfff0000000000000
	s_xor_b32 exec_lo, exec_lo, s41
	s_cbranch_execnz .LBB8_33
.LBB8_31:                               ;   in Loop: Header=BB8_29 Depth=2
	s_or_b32 exec_lo, exec_lo, s41
	s_and_saveexec_b32 s3, s40
	s_cbranch_execz .LBB8_28
	s_branch .LBB8_42
.LBB8_32:                               ;   in Loop: Header=BB8_29 Depth=2
	v_cmp_lt_i64_e64 s3, s[26:27], v[2:3]
	s_and_b32 s3, s3, s38
	s_delay_alu instid0(SALU_CYCLE_1) | instskip(NEXT) | instid1(SALU_CYCLE_1)
	s_nor_b32 s3, vcc_lo, s3
	s_and_b32 s40, s3, exec_lo
	s_or_saveexec_b32 s41, s4
	v_mov_b64_e32 v[38:39], 0xfff0000000000000
	s_xor_b32 exec_lo, exec_lo, s41
	s_cbranch_execz .LBB8_31
.LBB8_33:                               ;   in Loop: Header=BB8_29 Depth=2
	v_add_nc_u64_e32 v[38:39], v[32:33], v[10:11]
	v_mov_b64_e32 v[40:41], 0xfff0000000000000
	v_mov_b64_e32 v[42:43], 0xfff0000000000000
	global_load_b64 v[44:45], v[38:39], off
	s_wait_loadcnt 0x0
	v_mov_b64_e32 v[38:39], v[44:45]
	s_and_saveexec_b32 s4, s2
	s_cbranch_execz .LBB8_37
; %bb.34:                               ;   in Loop: Header=BB8_29 Depth=2
	v_add_nc_u64_e32 v[38:39], v[34:35], v[10:11]
	s_mov_b32 s5, exec_lo
	global_load_b64 v[42:43], v[38:39], off
	s_wait_xcnt 0x0
	v_mov_b64_e32 v[38:39], v[44:45]
	s_wait_loadcnt 0x0
	v_cmpx_gt_f64_e32 v[42:43], v[44:45]
; %bb.35:                               ;   in Loop: Header=BB8_29 Depth=2
	v_mov_b64_e32 v[38:39], v[42:43]
; %bb.36:                               ;   in Loop: Header=BB8_29 Depth=2
	s_or_b32 exec_lo, exec_lo, s5
.LBB8_37:                               ;   in Loop: Header=BB8_29 Depth=2
	s_delay_alu instid0(SALU_CYCLE_1)
	s_or_b32 exec_lo, exec_lo, s4
	s_and_saveexec_b32 s4, s33
	s_cbranch_execz .LBB8_41
; %bb.38:                               ;   in Loop: Header=BB8_29 Depth=2
	v_add_nc_u64_e32 v[40:41], v[30:31], v[10:11]
	s_mov_b32 s5, exec_lo
	global_load_b64 v[40:41], v[40:41], off
	s_wait_loadcnt 0x0
	v_cmpx_gt_f64_e32 v[40:41], v[38:39]
; %bb.39:                               ;   in Loop: Header=BB8_29 Depth=2
	v_mov_b64_e32 v[38:39], v[40:41]
; %bb.40:                               ;   in Loop: Header=BB8_29 Depth=2
	s_or_b32 exec_lo, exec_lo, s5
.LBB8_41:                               ;   in Loop: Header=BB8_29 Depth=2
	s_delay_alu instid0(SALU_CYCLE_1) | instskip(NEXT) | instid1(VALU_DEP_1)
	s_or_b32 exec_lo, exec_lo, s4
	v_cmp_neq_f64_e64 s3, 0xfff00000, v[38:39]
	s_or_b32 s40, s40, exec_lo
	v_dual_cndmask_b32 v39, 0, v39, s3 :: v_dual_cndmask_b32 v38, 0, v38, s3
	s_delay_alu instid0(VALU_DEP_1) | instskip(SKIP_1) | instid1(VALU_DEP_2)
	v_add_f64_e64 v[44:45], v[44:45], -v[38:39]
	v_add_f64_e64 v[42:43], v[42:43], -v[38:39]
	v_mul_f64_e32 v[46:47], 0x3ff71547652b82fe, v[44:45]
	s_delay_alu instid0(VALU_DEP_2)
	v_mul_f64_e32 v[48:49], 0x3ff71547652b82fe, v[42:43]
	v_cmp_nlt_f64_e64 s5, 0x40900000, v[42:43]
	v_cmp_nlt_f64_e64 s3, 0x40900000, v[44:45]
	v_cmp_ngt_f64_e64 s4, 0xc090cc00, v[44:45]
	v_cmp_ngt_f64_e64 s6, 0xc090cc00, v[42:43]
	v_rndne_f64_e32 v[46:47], v[46:47]
	v_rndne_f64_e32 v[48:49], v[48:49]
	s_delay_alu instid0(VALU_DEP_2) | instskip(NEXT) | instid1(VALU_DEP_2)
	v_fmamk_f64 v[52:53], v[46:47], 0xbfe62e42fefa39ef, v[44:45]
	v_fmamk_f64 v[54:55], v[48:49], 0xbfe62e42fefa39ef, v[42:43]
	v_cvt_i32_f64_e32 v64, v[46:47]
	s_delay_alu instid0(VALU_DEP_3) | instskip(NEXT) | instid1(VALU_DEP_3)
	v_fmac_f64_e32 v[52:53], 0xbc7abc9e3b39803f, v[46:47]
	v_fmac_f64_e32 v[54:55], 0xbc7abc9e3b39803f, v[48:49]
	s_delay_alu instid0(VALU_DEP_2) | instskip(NEXT) | instid1(VALU_DEP_2)
	v_fmamk_f64 v[58:59], v[52:53], 0x3e5ade156a5dcb37, v[16:17]
	v_fmamk_f64 v[60:61], v[54:55], 0x3e5ade156a5dcb37, v[16:17]
	s_delay_alu instid0(VALU_DEP_2) | instskip(NEXT) | instid1(VALU_DEP_2)
	v_fmaak_f64 v[58:59], v[52:53], v[58:59], 0x3ec71dee623fde64
	v_fmaak_f64 v[60:61], v[54:55], v[60:61], 0x3ec71dee623fde64
	s_delay_alu instid0(VALU_DEP_2) | instskip(NEXT) | instid1(VALU_DEP_2)
	v_fmaak_f64 v[58:59], v[52:53], v[58:59], 0x3efa01997c89e6b0
	v_fmaak_f64 v[60:61], v[54:55], v[60:61], 0x3efa01997c89e6b0
	;; [unrolled: 3-line block ×8, first 2 shown]
	s_delay_alu instid0(VALU_DEP_2) | instskip(NEXT) | instid1(VALU_DEP_2)
	v_fma_f64 v[58:59], v[52:53], v[58:59], 1.0
	v_fma_f64 v[60:61], v[54:55], v[60:61], 1.0
	s_delay_alu instid0(VALU_DEP_2) | instskip(SKIP_1) | instid1(VALU_DEP_3)
	v_fma_f64 v[46:47], v[52:53], v[58:59], 1.0
	v_cvt_i32_f64_e32 v52, v[48:49]
	v_fma_f64 v[48:49], v[54:55], v[60:61], 1.0
	global_load_b64 v[60:61], v[28:29], off
	v_ldexp_f64 v[46:47], v[46:47], v64
	v_ldexp_f64 v[48:49], v[48:49], v52
	s_delay_alu instid0(VALU_DEP_2) | instskip(SKIP_1) | instid1(VALU_DEP_2)
	v_cndmask_b32_e64 v47, 0x7ff00000, v47, s3
	s_and_b32 s3, s4, s3
	v_cndmask_b32_e64 v44, 0x7ff00000, v49, s5
	s_delay_alu instid0(VALU_DEP_1) | instskip(NEXT) | instid1(VALU_DEP_1)
	v_dual_add_f64 v[40:41], v[40:41], -v[38:39] :: v_dual_cndmask_b32 v43, 0, v44, s6
	v_mul_f64_e32 v[50:51], 0x3ff71547652b82fe, v[40:41]
	v_cmp_nlt_f64_e64 s7, 0x40900000, v[40:41]
	v_cmp_ngt_f64_e64 s8, 0xc090cc00, v[40:41]
	s_delay_alu instid0(VALU_DEP_3) | instskip(NEXT) | instid1(VALU_DEP_1)
	v_rndne_f64_e32 v[50:51], v[50:51]
	v_fmamk_f64 v[56:57], v[50:51], 0xbfe62e42fefa39ef, v[40:41]
	v_cvt_i32_f64_e32 v53, v[50:51]
	v_dual_cndmask_b32 v41, 0, v47, s4 :: v_dual_cndmask_b32 v40, 0, v46, s3
	s_and_b32 s3, s6, s5
	s_delay_alu instid0(SALU_CYCLE_1) | instskip(NEXT) | instid1(VALU_DEP_4)
	v_cndmask_b32_e64 v42, 0, v48, s3
	v_fmac_f64_e32 v[56:57], 0xbc7abc9e3b39803f, v[50:51]
	s_and_b32 s3, s8, s7
	s_delay_alu instid0(VALU_DEP_1) | instskip(NEXT) | instid1(VALU_DEP_1)
	v_fmamk_f64 v[62:63], v[56:57], 0x3e5ade156a5dcb37, v[16:17]
	v_fmaak_f64 v[62:63], v[56:57], v[62:63], 0x3ec71dee623fde64
	s_delay_alu instid0(VALU_DEP_1) | instskip(NEXT) | instid1(VALU_DEP_1)
	v_fmaak_f64 v[62:63], v[56:57], v[62:63], 0x3efa01997c89e6b0
	v_fmaak_f64 v[62:63], v[56:57], v[62:63], 0x3f2a01a014761f6e
	s_delay_alu instid0(VALU_DEP_1) | instskip(NEXT) | instid1(VALU_DEP_1)
	v_fmaak_f64 v[62:63], v[56:57], v[62:63], 0x3f56c16c1852b7b0
	;; [unrolled: 3-line block ×4, first 2 shown]
	v_fma_f64 v[62:63], v[56:57], v[62:63], 1.0
	s_delay_alu instid0(VALU_DEP_1) | instskip(NEXT) | instid1(VALU_DEP_1)
	v_fma_f64 v[50:51], v[56:57], v[62:63], 1.0
	v_ldexp_f64 v[50:51], v[50:51], v53
	s_delay_alu instid0(VALU_DEP_1) | instskip(SKIP_1) | instid1(VALU_DEP_2)
	v_cndmask_b32_e64 v45, 0x7ff00000, v51, s7
	v_add_f64_e32 v[40:41], v[40:41], v[42:43]
	v_dual_cndmask_b32 v42, 0, v50, s3 :: v_dual_cndmask_b32 v43, 0, v45, s8
	s_delay_alu instid0(VALU_DEP_1) | instskip(NEXT) | instid1(VALU_DEP_1)
	v_add_f64_e32 v[40:41], v[42:43], v[40:41]
	v_frexp_mant_f64_e32 v[42:43], v[40:41]
	s_delay_alu instid0(VALU_DEP_1) | instskip(NEXT) | instid1(VALU_DEP_1)
	v_cmp_gt_f64_e64 s3, s[14:15], v[42:43]
	v_cndmask_b32_e64 v44, 0, 1, s3
	s_delay_alu instid0(VALU_DEP_1) | instskip(NEXT) | instid1(VALU_DEP_1)
	v_ldexp_f64 v[42:43], v[42:43], v44
	v_add_f64_e32 v[44:45], 1.0, v[42:43]
	v_add_f64_e32 v[50:51], -1.0, v[42:43]
	s_delay_alu instid0(VALU_DEP_2) | instskip(SKIP_1) | instid1(VALU_DEP_1)
	v_rcp_f64_e32 v[46:47], v[44:45]
	v_add_f64_e32 v[52:53], -1.0, v[44:45]
	v_add_f64_e64 v[42:43], v[42:43], -v[52:53]
	s_delay_alu instid0(TRANS32_DEP_1) | instskip(NEXT) | instid1(VALU_DEP_1)
	v_fma_f64 v[48:49], -v[44:45], v[46:47], 1.0
	v_fmac_f64_e32 v[46:47], v[48:49], v[46:47]
	s_delay_alu instid0(VALU_DEP_1) | instskip(NEXT) | instid1(VALU_DEP_1)
	v_fma_f64 v[48:49], -v[44:45], v[46:47], 1.0
	v_fmac_f64_e32 v[46:47], v[48:49], v[46:47]
	s_delay_alu instid0(VALU_DEP_1) | instskip(NEXT) | instid1(VALU_DEP_1)
	v_mul_f64_e32 v[48:49], v[50:51], v[46:47]
	v_mul_f64_e32 v[54:55], v[44:45], v[48:49]
	s_delay_alu instid0(VALU_DEP_1) | instskip(NEXT) | instid1(VALU_DEP_1)
	v_fma_f64 v[44:45], v[48:49], v[44:45], -v[54:55]
	v_fmac_f64_e32 v[44:45], v[48:49], v[42:43]
	s_delay_alu instid0(VALU_DEP_1) | instskip(NEXT) | instid1(VALU_DEP_1)
	v_add_f64_e32 v[42:43], v[54:55], v[44:45]
	v_add_f64_e64 v[52:53], v[50:51], -v[42:43]
	v_add_f64_e64 v[54:55], v[42:43], -v[54:55]
	s_delay_alu instid0(VALU_DEP_2) | instskip(NEXT) | instid1(VALU_DEP_2)
	v_add_f64_e64 v[50:51], v[50:51], -v[52:53]
	v_add_f64_e64 v[44:45], v[54:55], -v[44:45]
	v_frexp_exp_i32_f64_e32 v54, v[40:41]
	s_delay_alu instid0(VALU_DEP_3) | instskip(NEXT) | instid1(VALU_DEP_1)
	v_add_f64_e64 v[42:43], v[50:51], -v[42:43]
	v_add_f64_e32 v[42:43], v[44:45], v[42:43]
	s_delay_alu instid0(VALU_DEP_1) | instskip(NEXT) | instid1(VALU_DEP_1)
	v_add_f64_e32 v[42:43], v[52:53], v[42:43]
	v_mul_f64_e32 v[42:43], v[46:47], v[42:43]
	s_delay_alu instid0(VALU_DEP_1) | instskip(NEXT) | instid1(VALU_DEP_1)
	v_add_f64_e32 v[44:45], v[48:49], v[42:43]
	v_mul_f64_e32 v[46:47], v[44:45], v[44:45]
	s_delay_alu instid0(VALU_DEP_1) | instskip(SKIP_1) | instid1(VALU_DEP_2)
	v_fmamk_f64 v[50:51], v[46:47], 0x3fc3ab76bf559e2b, v[26:27]
	v_mul_f64_e32 v[52:53], v[44:45], v[46:47]
	v_fmaak_f64 v[50:51], v[46:47], v[50:51], 0x3fc7474dd7f4df2e
	s_delay_alu instid0(VALU_DEP_1) | instskip(NEXT) | instid1(VALU_DEP_1)
	v_fmaak_f64 v[50:51], v[46:47], v[50:51], 0x3fcc71c016291751
	v_fmaak_f64 v[50:51], v[46:47], v[50:51], 0x3fd249249b27acf1
	s_delay_alu instid0(VALU_DEP_1) | instskip(NEXT) | instid1(VALU_DEP_1)
	v_fmaak_f64 v[50:51], v[46:47], v[50:51], 0x3fd99999998ef7b6
	v_fmaak_f64 v[46:47], v[46:47], v[50:51], 0x3fe5555555555780
	v_ldexp_f64 v[50:51], v[44:45], 1
	v_add_f64_e64 v[44:45], v[44:45], -v[48:49]
	s_delay_alu instid0(VALU_DEP_3) | instskip(SKIP_2) | instid1(VALU_DEP_2)
	v_mul_f64_e32 v[46:47], v[52:53], v[46:47]
	v_subrev_co_ci_u32_e64 v52, null, 0, v54, s3
	v_cmp_class_f64_e64 s3, v[40:41], 0x204
	v_cvt_f64_i32_e32 v[52:53], v52
	v_add_f64_e64 v[42:43], v[42:43], -v[44:45]
	v_add_f64_e32 v[48:49], v[50:51], v[46:47]
	s_delay_alu instid0(VALU_DEP_3) | instskip(NEXT) | instid1(VALU_DEP_3)
	v_mul_f64_e32 v[54:55], 0x3fe62e42fefa39ef, v[52:53]
	v_ldexp_f64 v[42:43], v[42:43], 1
	s_delay_alu instid0(VALU_DEP_3) | instskip(NEXT) | instid1(VALU_DEP_3)
	v_add_f64_e64 v[44:45], v[48:49], -v[50:51]
	v_fma_f64 v[50:51], v[52:53], s[16:17], -v[54:55]
	s_delay_alu instid0(VALU_DEP_2) | instskip(NEXT) | instid1(VALU_DEP_2)
	v_add_f64_e64 v[44:45], v[46:47], -v[44:45]
	v_fmac_f64_e32 v[50:51], 0x3c7abc9e3b39803f, v[52:53]
	s_delay_alu instid0(VALU_DEP_2) | instskip(NEXT) | instid1(VALU_DEP_2)
	v_add_f64_e32 v[42:43], v[42:43], v[44:45]
	v_add_f64_e32 v[44:45], v[54:55], v[50:51]
	s_delay_alu instid0(VALU_DEP_2) | instskip(NEXT) | instid1(VALU_DEP_2)
	v_add_f64_e32 v[46:47], v[48:49], v[42:43]
	v_add_f64_e64 v[54:55], v[44:45], -v[54:55]
	s_delay_alu instid0(VALU_DEP_2) | instskip(SKIP_1) | instid1(VALU_DEP_3)
	v_add_f64_e32 v[52:53], v[44:45], v[46:47]
	v_add_f64_e64 v[48:49], v[46:47], -v[48:49]
	v_add_f64_e64 v[50:51], v[50:51], -v[54:55]
	s_delay_alu instid0(VALU_DEP_3) | instskip(NEXT) | instid1(VALU_DEP_3)
	v_add_f64_e64 v[56:57], v[52:53], -v[44:45]
	v_add_f64_e64 v[42:43], v[42:43], -v[48:49]
	s_delay_alu instid0(VALU_DEP_2) | instskip(SKIP_1) | instid1(VALU_DEP_3)
	v_add_f64_e64 v[58:59], v[52:53], -v[56:57]
	v_add_f64_e64 v[46:47], v[46:47], -v[56:57]
	v_add_f64_e32 v[48:49], v[50:51], v[42:43]
	s_delay_alu instid0(VALU_DEP_3) | instskip(NEXT) | instid1(VALU_DEP_1)
	v_add_f64_e64 v[44:45], v[44:45], -v[58:59]
	v_add_f64_e32 v[44:45], v[46:47], v[44:45]
	s_delay_alu instid0(VALU_DEP_3) | instskip(NEXT) | instid1(VALU_DEP_2)
	v_add_f64_e64 v[46:47], v[48:49], -v[50:51]
	v_add_f64_e32 v[44:45], v[48:49], v[44:45]
	s_delay_alu instid0(VALU_DEP_2) | instskip(SKIP_1) | instid1(VALU_DEP_3)
	v_add_f64_e64 v[48:49], v[48:49], -v[46:47]
	v_add_f64_e64 v[42:43], v[42:43], -v[46:47]
	v_add_f64_e32 v[54:55], v[52:53], v[44:45]
	s_delay_alu instid0(VALU_DEP_3) | instskip(NEXT) | instid1(VALU_DEP_2)
	v_add_f64_e64 v[46:47], v[50:51], -v[48:49]
	v_add_f64_e64 v[48:49], v[54:55], -v[52:53]
	s_delay_alu instid0(VALU_DEP_2) | instskip(NEXT) | instid1(VALU_DEP_2)
	v_add_f64_e32 v[42:43], v[42:43], v[46:47]
	v_add_f64_e64 v[44:45], v[44:45], -v[48:49]
	s_delay_alu instid0(VALU_DEP_1) | instskip(NEXT) | instid1(VALU_DEP_1)
	v_add_f64_e32 v[42:43], v[42:43], v[44:45]
	v_add_f64_e32 v[42:43], v[54:55], v[42:43]
	s_delay_alu instid0(VALU_DEP_1) | instskip(SKIP_1) | instid1(VALU_DEP_1)
	v_dual_cndmask_b32 v42, v42, v40, s3 :: v_dual_cndmask_b32 v43, v43, v41, s3
	v_cmp_ngt_f64_e64 s3, 0, v[40:41]
	v_cndmask_b32_e64 v43, 0x7ff80000, v43, s3
	v_cmp_nge_f64_e64 s3, 0, v[40:41]
	s_delay_alu instid0(VALU_DEP_1) | instskip(SKIP_1) | instid1(VALU_DEP_1)
	v_cndmask_b32_e64 v42, 0, v42, s3
	v_cmp_neq_f64_e64 s3, 0, v[40:41]
	v_cndmask_b32_e64 v43, 0xfff00000, v43, s3
	s_delay_alu instid0(VALU_DEP_1) | instskip(SKIP_1) | instid1(VALU_DEP_1)
	v_add_f64_e32 v[38:39], v[38:39], v[42:43]
	s_wait_loadcnt 0x0
	v_add_f64_e32 v[38:39], v[60:61], v[38:39]
	s_or_b32 exec_lo, exec_lo, s41
	s_and_saveexec_b32 s3, s40
	s_cbranch_execz .LBB8_28
.LBB8_42:                               ;   in Loop: Header=BB8_29 Depth=2
	v_add_nc_u64_e32 v[40:41], v[36:37], v[10:11]
	global_store_b64 v[40:41], v[38:39], off
	s_branch .LBB8_28
.LBB8_43:
	s_sendmsg sendmsg(MSG_DEALLOC_VGPRS)
	s_endpgm
.LBB8_44:
                                        ; implicit-def: $sgpr2_sgpr3
	s_branch .LBB8_4
	.section	.rodata,"a",@progbits
	.p2align	6, 0x0
	.amdhsa_kernel _ZN2at6native12_GLOBAL__N_137ctc_loss_backward_log_beta_gpu_kernelIdiEEvPT_PKS3_PKllPKT0_S8_lllllllS8_lll
		.amdhsa_group_segment_fixed_size 0
		.amdhsa_private_segment_fixed_size 0
		.amdhsa_kernarg_size 392
		.amdhsa_user_sgpr_count 2
		.amdhsa_user_sgpr_dispatch_ptr 0
		.amdhsa_user_sgpr_queue_ptr 0
		.amdhsa_user_sgpr_kernarg_segment_ptr 1
		.amdhsa_user_sgpr_dispatch_id 0
		.amdhsa_user_sgpr_kernarg_preload_length 0
		.amdhsa_user_sgpr_kernarg_preload_offset 0
		.amdhsa_user_sgpr_private_segment_size 0
		.amdhsa_wavefront_size32 1
		.amdhsa_uses_dynamic_stack 0
		.amdhsa_enable_private_segment 0
		.amdhsa_system_sgpr_workgroup_id_x 1
		.amdhsa_system_sgpr_workgroup_id_y 1
		.amdhsa_system_sgpr_workgroup_id_z 0
		.amdhsa_system_sgpr_workgroup_info 0
		.amdhsa_system_vgpr_workitem_id 1
		.amdhsa_next_free_vgpr 65
		.amdhsa_next_free_sgpr 42
		.amdhsa_named_barrier_count 0
		.amdhsa_reserve_vcc 1
		.amdhsa_float_round_mode_32 0
		.amdhsa_float_round_mode_16_64 0
		.amdhsa_float_denorm_mode_32 3
		.amdhsa_float_denorm_mode_16_64 3
		.amdhsa_fp16_overflow 0
		.amdhsa_memory_ordered 1
		.amdhsa_forward_progress 1
		.amdhsa_inst_pref_size 31
		.amdhsa_round_robin_scheduling 0
		.amdhsa_exception_fp_ieee_invalid_op 0
		.amdhsa_exception_fp_denorm_src 0
		.amdhsa_exception_fp_ieee_div_zero 0
		.amdhsa_exception_fp_ieee_overflow 0
		.amdhsa_exception_fp_ieee_underflow 0
		.amdhsa_exception_fp_ieee_inexact 0
		.amdhsa_exception_int_div_zero 0
	.end_amdhsa_kernel
	.section	.text._ZN2at6native12_GLOBAL__N_137ctc_loss_backward_log_beta_gpu_kernelIdiEEvPT_PKS3_PKllPKT0_S8_lllllllS8_lll,"axG",@progbits,_ZN2at6native12_GLOBAL__N_137ctc_loss_backward_log_beta_gpu_kernelIdiEEvPT_PKS3_PKllPKT0_S8_lllllllS8_lll,comdat
.Lfunc_end8:
	.size	_ZN2at6native12_GLOBAL__N_137ctc_loss_backward_log_beta_gpu_kernelIdiEEvPT_PKS3_PKllPKT0_S8_lllllllS8_lll, .Lfunc_end8-_ZN2at6native12_GLOBAL__N_137ctc_loss_backward_log_beta_gpu_kernelIdiEEvPT_PKS3_PKllPKT0_S8_lllllllS8_lll
                                        ; -- End function
	.set _ZN2at6native12_GLOBAL__N_137ctc_loss_backward_log_beta_gpu_kernelIdiEEvPT_PKS3_PKllPKT0_S8_lllllllS8_lll.num_vgpr, 65
	.set _ZN2at6native12_GLOBAL__N_137ctc_loss_backward_log_beta_gpu_kernelIdiEEvPT_PKS3_PKllPKT0_S8_lllllllS8_lll.num_agpr, 0
	.set _ZN2at6native12_GLOBAL__N_137ctc_loss_backward_log_beta_gpu_kernelIdiEEvPT_PKS3_PKllPKT0_S8_lllllllS8_lll.numbered_sgpr, 42
	.set _ZN2at6native12_GLOBAL__N_137ctc_loss_backward_log_beta_gpu_kernelIdiEEvPT_PKS3_PKllPKT0_S8_lllllllS8_lll.num_named_barrier, 0
	.set _ZN2at6native12_GLOBAL__N_137ctc_loss_backward_log_beta_gpu_kernelIdiEEvPT_PKS3_PKllPKT0_S8_lllllllS8_lll.private_seg_size, 0
	.set _ZN2at6native12_GLOBAL__N_137ctc_loss_backward_log_beta_gpu_kernelIdiEEvPT_PKS3_PKllPKT0_S8_lllllllS8_lll.uses_vcc, 1
	.set _ZN2at6native12_GLOBAL__N_137ctc_loss_backward_log_beta_gpu_kernelIdiEEvPT_PKS3_PKllPKT0_S8_lllllllS8_lll.uses_flat_scratch, 0
	.set _ZN2at6native12_GLOBAL__N_137ctc_loss_backward_log_beta_gpu_kernelIdiEEvPT_PKS3_PKllPKT0_S8_lllllllS8_lll.has_dyn_sized_stack, 0
	.set _ZN2at6native12_GLOBAL__N_137ctc_loss_backward_log_beta_gpu_kernelIdiEEvPT_PKS3_PKllPKT0_S8_lllllllS8_lll.has_recursion, 0
	.set _ZN2at6native12_GLOBAL__N_137ctc_loss_backward_log_beta_gpu_kernelIdiEEvPT_PKS3_PKllPKT0_S8_lllllllS8_lll.has_indirect_call, 0
	.section	.AMDGPU.csdata,"",@progbits
; Kernel info:
; codeLenInByte = 3968
; TotalNumSgprs: 44
; NumVgprs: 65
; ScratchSize: 0
; MemoryBound: 0
; FloatMode: 240
; IeeeMode: 1
; LDSByteSize: 0 bytes/workgroup (compile time only)
; SGPRBlocks: 0
; VGPRBlocks: 4
; NumSGPRsForWavesPerEU: 44
; NumVGPRsForWavesPerEU: 65
; NamedBarCnt: 0
; Occupancy: 12
; WaveLimiterHint : 1
; COMPUTE_PGM_RSRC2:SCRATCH_EN: 0
; COMPUTE_PGM_RSRC2:USER_SGPR: 2
; COMPUTE_PGM_RSRC2:TRAP_HANDLER: 0
; COMPUTE_PGM_RSRC2:TGID_X_EN: 1
; COMPUTE_PGM_RSRC2:TGID_Y_EN: 1
; COMPUTE_PGM_RSRC2:TGID_Z_EN: 0
; COMPUTE_PGM_RSRC2:TIDIG_COMP_CNT: 1
	.section	.text._ZN2at6native12_GLOBAL__N_145ctc_loss_backward_collect_nonblank_gpu_kernelIdiEEvPT_PKS3_lS6_S6_S6_PKlPKT0_S8_S6_llllllllllllS8_llb,"axG",@progbits,_ZN2at6native12_GLOBAL__N_145ctc_loss_backward_collect_nonblank_gpu_kernelIdiEEvPT_PKS3_lS6_S6_S6_PKlPKT0_S8_S6_llllllllllllS8_llb,comdat
	.globl	_ZN2at6native12_GLOBAL__N_145ctc_loss_backward_collect_nonblank_gpu_kernelIdiEEvPT_PKS3_lS6_S6_S6_PKlPKT0_S8_S6_llllllllllllS8_llb ; -- Begin function _ZN2at6native12_GLOBAL__N_145ctc_loss_backward_collect_nonblank_gpu_kernelIdiEEvPT_PKS3_lS6_S6_S6_PKlPKT0_S8_S6_llllllllllllS8_llb
	.p2align	8
	.type	_ZN2at6native12_GLOBAL__N_145ctc_loss_backward_collect_nonblank_gpu_kernelIdiEEvPT_PKS3_lS6_S6_S6_PKlPKT0_S8_S6_llllllllllllS8_llb,@function
_ZN2at6native12_GLOBAL__N_145ctc_loss_backward_collect_nonblank_gpu_kernelIdiEEvPT_PKS3_lS6_S6_S6_PKlPKT0_S8_S6_llllllllllllS8_llb: ; @_ZN2at6native12_GLOBAL__N_145ctc_loss_backward_collect_nonblank_gpu_kernelIdiEEvPT_PKS3_lS6_S6_S6_PKlPKT0_S8_S6_llllllllllllS8_llb
; %bb.0:
	s_clause 0x1
	s_load_b32 s2, s[0:1], 0xdc
	s_load_b128 s[4:7], s[0:1], 0xb8
	s_bfe_u32 s3, ttmp6, 0x40010
	s_bfe_u32 s8, ttmp6, 0x40004
	s_add_co_i32 s3, s3, 1
	v_bfe_u32 v1, v0, 10, 10
	s_mul_i32 s9, ttmp7, s3
	s_getreg_b32 s3, hwreg(HW_REG_IB_STS2, 6, 4)
	s_add_co_i32 s8, s8, s9
	v_mov_b32_e32 v5, 0
	s_wait_kmcnt 0x0
	s_lshr_b32 s9, s2, 16
	s_cmp_eq_u32 s3, 0
	s_cselect_b32 s8, ttmp7, s8
	s_delay_alu instid0(SALU_CYCLE_1) | instskip(NEXT) | instid1(VALU_DEP_1)
	v_mad_u32 v4, s8, s9, v1
	v_cmp_gt_i64_e32 vcc_lo, s[6:7], v[4:5]
	s_and_saveexec_b32 s6, vcc_lo
	s_cbranch_execz .LBB9_5
; %bb.1:
	s_load_b64 s[6:7], s[0:1], 0x40
	v_and_b32_e32 v0, 0x3ff, v0
	v_mov_b32_e32 v1, v5
	s_and_b32 s2, s2, 0xffff
	s_wait_kmcnt 0x0
	v_lshl_add_u64 v[2:3], v[4:5], 3, s[6:7]
	s_bfe_u32 s6, ttmp6, 0x4000c
	s_and_b32 s7, ttmp6, 15
	s_add_co_i32 s6, s6, 1
	s_delay_alu instid0(SALU_CYCLE_1) | instskip(SKIP_4) | instid1(SALU_CYCLE_1)
	s_mul_i32 s6, ttmp9, s6
	global_load_b64 v[2:3], v[2:3], off
	s_add_co_i32 s7, s7, s6
	s_cmp_eq_u32 s3, 0
	s_cselect_b32 s3, ttmp9, s7
	v_mad_nc_u64_u32 v[8:9], s2, s3, v[0:1]
	s_wait_loadcnt 0x0
	s_delay_alu instid0(VALU_DEP_1)
	v_cmp_lt_i64_e32 vcc_lo, v[8:9], v[2:3]
	s_and_b32 exec_lo, exec_lo, vcc_lo
	s_cbranch_execz .LBB9_5
; %bb.2:
	s_load_b64 s[2:3], s[0:1], 0x48
	v_lshlrev_b64_e32 v[2:3], 3, v[4:5]
	s_clause 0x1
	s_load_b32 s8, s[0:1], 0xc8
	s_load_b64 s[6:7], s[0:1], 0x30
	s_wait_kmcnt 0x0
	s_delay_alu instid0(VALU_DEP_1) | instskip(SKIP_3) | instid1(SALU_CYCLE_1)
	v_add_nc_u64_e32 v[0:1], s[2:3], v[2:3]
	s_bitcmp1_b32 s8, 0
	v_add_nc_u64_e32 v[2:3], s[6:7], v[2:3]
	s_cselect_b32 s3, -1, 0
	s_xor_b32 s3, s3, -1
	global_load_b64 v[0:1], v[0:1], off
	global_load_b64 v[2:3], v[2:3], off
	s_wait_loadcnt 0x1
	v_cmp_neq_f64_e32 vcc_lo, 0x7ff00000, v[0:1]
	s_wait_loadcnt 0x0
	v_cmp_lt_i64_e64 s2, 0, v[2:3]
	s_or_b32 s3, s3, vcc_lo
	s_delay_alu instid0(SALU_CYCLE_1) | instskip(NEXT) | instid1(SALU_CYCLE_1)
	s_and_b32 s2, s3, s2
	s_and_b32 exec_lo, exec_lo, s2
	s_cbranch_execz .LBB9_5
; %bb.3:
	s_load_b64 s[2:3], s[0:1], 0xb0
	v_mul_u64_e32 v[10:11], s[4:5], v[8:9]
	v_lshlrev_b64_e32 v[8:9], 1, v[8:9]
	s_wait_kmcnt 0x0
	v_lshl_add_u64 v[6:7], v[4:5], 3, s[2:3]
	global_load_b64 v[6:7], v[6:7], off
	s_clause 0x1
	s_load_b64 s[2:3], s[0:1], 0x38
	s_load_b256 s[20:27], s[0:1], 0x0
	s_wait_loadcnt 0x0
	s_wait_kmcnt 0x0
	v_lshl_add_u64 v[6:7], v[6:7], 2, s[2:3]
	s_delay_alu instid0(VALU_DEP_1) | instskip(SKIP_4) | instid1(VALU_DEP_2)
	v_lshl_add_u64 v[6:7], v[10:11], 2, v[6:7]
	global_load_b32 v10, v[6:7], off
	s_wait_xcnt 0x0
	v_mul_u64_e32 v[6:7], s[24:25], v[4:5]
	v_or_b32_e32 v8, 1, v8
	v_lshl_add_u64 v[6:7], v[6:7], 3, s[22:23]
	global_load_b64 v[6:7], v[6:7], off
	s_clause 0x1
	s_load_b512 s[4:19], s[0:1], 0x50
	s_load_b256 s[36:43], s[0:1], 0x90
	s_wait_kmcnt 0x0
	v_mul_u64_e32 v[12:13], s[12:13], v[4:5]
	v_mul_u64_e32 v[14:15], s[16:17], v[4:5]
	;; [unrolled: 1-line block ×4, first 2 shown]
	s_load_b128 s[0:3], s[0:1], 0x20
	v_mov_b64_e32 v[4:5], 0x3e928af3fca7ab0c
	s_lshl_b64 s[6:7], s[18:19], 3
	s_lshl_b64 s[4:5], s[4:5], 3
	s_wait_kmcnt 0x0
	v_lshl_add_u64 v[12:13], v[12:13], 3, s[2:3]
	s_lshl_b64 s[2:3], s[40:41], 3
	s_wait_loadcnt 0x1
	v_ashrrev_i32_e32 v11, 31, v10
	v_mul_u64_e32 v[20:21], s[36:37], v[8:9]
	v_mul_u64_e32 v[22:23], s[42:43], v[8:9]
	v_lshl_add_u64 v[8:9], v[14:15], 3, s[26:27]
	v_lshl_add_u64 v[14:15], v[18:19], 3, s[20:21]
	v_mul_u64_e32 v[24:25], s[14:15], v[10:11]
	v_mul_u64_e32 v[26:27], s[8:9], v[10:11]
	v_lshl_add_u64 v[10:11], v[16:17], 3, s[0:1]
	s_lshl_b64 s[8:9], s[10:11], 3
	s_mov_b32 s1, 0
                                        ; implicit-def: $vgpr16_vgpr17
                                        ; implicit-def: $vgpr16_vgpr17
	;; [unrolled: 1-line block ×8, first 2 shown]
	v_lshl_add_u64 v[8:9], v[20:21], 3, v[8:9]
	s_delay_alu instid0(VALU_DEP_2)
	v_lshl_add_u64 v[10:11], v[22:23], 3, v[10:11]
	v_lshl_add_u64 v[12:13], v[24:25], 3, v[12:13]
	;; [unrolled: 1-line block ×3, first 2 shown]
.LBB9_4:                                ; =>This Inner Loop Header: Depth=1
	global_load_b64 v[16:17], v[8:9], off
	global_load_b64 v[18:19], v[10:11], off
	;; [unrolled: 1-line block ×3, first 2 shown]
	v_add_nc_u64_e32 v[2:3], -1, v[2:3]
	s_wait_xcnt 0x1
	v_add_nc_u64_e32 v[10:11], s[2:3], v[10:11]
	v_add_nc_u64_e32 v[8:9], s[6:7], v[8:9]
	s_wait_xcnt 0x0
	v_add_nc_u64_e32 v[12:13], s[8:9], v[12:13]
	s_wait_loadcnt 0x1
	v_add_f64_e32 v[16:17], v[16:17], v[18:19]
	s_delay_alu instid0(VALU_DEP_1) | instskip(SKIP_1) | instid1(VALU_DEP_1)
	v_add_f64_e32 v[16:17], v[0:1], v[16:17]
	s_wait_loadcnt 0x0
	v_add_f64_e64 v[16:17], v[16:17], -v[20:21]
	s_delay_alu instid0(VALU_DEP_1) | instskip(SKIP_2) | instid1(VALU_DEP_3)
	v_mul_f64_e32 v[18:19], 0x3ff71547652b82fe, v[16:17]
	v_cmp_nlt_f64_e32 vcc_lo, 0x40900000, v[16:17]
	v_cmp_ngt_f64_e64 s0, 0xc090cc00, v[16:17]
	v_rndne_f64_e32 v[18:19], v[18:19]
	s_delay_alu instid0(VALU_DEP_1) | instskip(SKIP_1) | instid1(VALU_DEP_2)
	v_fmamk_f64 v[20:21], v[18:19], 0xbfe62e42fefa39ef, v[16:17]
	v_cvt_i32_f64_e32 v24, v[18:19]
	v_fmac_f64_e32 v[20:21], 0xbc7abc9e3b39803f, v[18:19]
	s_delay_alu instid0(VALU_DEP_1) | instskip(NEXT) | instid1(VALU_DEP_1)
	v_fmamk_f64 v[22:23], v[20:21], 0x3e5ade156a5dcb37, v[4:5]
	v_fmaak_f64 v[22:23], v[20:21], v[22:23], 0x3ec71dee623fde64
	s_delay_alu instid0(VALU_DEP_1) | instskip(NEXT) | instid1(VALU_DEP_1)
	v_fmaak_f64 v[22:23], v[20:21], v[22:23], 0x3efa01997c89e6b0
	v_fmaak_f64 v[22:23], v[20:21], v[22:23], 0x3f2a01a014761f6e
	s_delay_alu instid0(VALU_DEP_1) | instskip(NEXT) | instid1(VALU_DEP_1)
	v_fmaak_f64 v[22:23], v[20:21], v[22:23], 0x3f56c16c1852b7b0
	;; [unrolled: 3-line block ×4, first 2 shown]
	v_fma_f64 v[22:23], v[20:21], v[22:23], 1.0
	s_delay_alu instid0(VALU_DEP_1) | instskip(NEXT) | instid1(VALU_DEP_1)
	v_fma_f64 v[18:19], v[20:21], v[22:23], 1.0
	v_ldexp_f64 v[18:19], -v[18:19], v24
	s_delay_alu instid0(VALU_DEP_1) | instskip(SKIP_1) | instid1(VALU_DEP_2)
	v_cndmask_b32_e32 v19, 0xfff00000, v19, vcc_lo
	s_and_b32 vcc_lo, s0, vcc_lo
	v_cndmask_b32_e32 v16, 0, v18, vcc_lo
	v_cmp_eq_u64_e32 vcc_lo, 0, v[2:3]
	s_delay_alu instid0(VALU_DEP_3) | instskip(NEXT) | instid1(VALU_DEP_1)
	v_cndmask_b32_e64 v17, 0x80000000, v19, s0
	v_mul_f64_e32 v[16:17], v[6:7], v[16:17]
	s_or_b32 s1, vcc_lo, s1
	global_atomic_add_f64 v[14:15], v[16:17], off scope:SCOPE_DEV
	s_wait_xcnt 0x0
	v_add_nc_u64_e32 v[14:15], s[4:5], v[14:15]
	s_and_not1_b32 exec_lo, exec_lo, s1
	s_cbranch_execnz .LBB9_4
.LBB9_5:
	s_endpgm
	.section	.rodata,"a",@progbits
	.p2align	6, 0x0
	.amdhsa_kernel _ZN2at6native12_GLOBAL__N_145ctc_loss_backward_collect_nonblank_gpu_kernelIdiEEvPT_PKS3_lS6_S6_S6_PKlPKT0_S8_S6_llllllllllllS8_llb
		.amdhsa_group_segment_fixed_size 0
		.amdhsa_private_segment_fixed_size 0
		.amdhsa_kernarg_size 464
		.amdhsa_user_sgpr_count 2
		.amdhsa_user_sgpr_dispatch_ptr 0
		.amdhsa_user_sgpr_queue_ptr 0
		.amdhsa_user_sgpr_kernarg_segment_ptr 1
		.amdhsa_user_sgpr_dispatch_id 0
		.amdhsa_user_sgpr_kernarg_preload_length 0
		.amdhsa_user_sgpr_kernarg_preload_offset 0
		.amdhsa_user_sgpr_private_segment_size 0
		.amdhsa_wavefront_size32 1
		.amdhsa_uses_dynamic_stack 0
		.amdhsa_enable_private_segment 0
		.amdhsa_system_sgpr_workgroup_id_x 1
		.amdhsa_system_sgpr_workgroup_id_y 1
		.amdhsa_system_sgpr_workgroup_id_z 0
		.amdhsa_system_sgpr_workgroup_info 0
		.amdhsa_system_vgpr_workitem_id 1
		.amdhsa_next_free_vgpr 28
		.amdhsa_next_free_sgpr 44
		.amdhsa_named_barrier_count 0
		.amdhsa_reserve_vcc 1
		.amdhsa_float_round_mode_32 0
		.amdhsa_float_round_mode_16_64 0
		.amdhsa_float_denorm_mode_32 3
		.amdhsa_float_denorm_mode_16_64 3
		.amdhsa_fp16_overflow 0
		.amdhsa_memory_ordered 1
		.amdhsa_forward_progress 1
		.amdhsa_inst_pref_size 9
		.amdhsa_round_robin_scheduling 0
		.amdhsa_exception_fp_ieee_invalid_op 0
		.amdhsa_exception_fp_denorm_src 0
		.amdhsa_exception_fp_ieee_div_zero 0
		.amdhsa_exception_fp_ieee_overflow 0
		.amdhsa_exception_fp_ieee_underflow 0
		.amdhsa_exception_fp_ieee_inexact 0
		.amdhsa_exception_int_div_zero 0
	.end_amdhsa_kernel
	.section	.text._ZN2at6native12_GLOBAL__N_145ctc_loss_backward_collect_nonblank_gpu_kernelIdiEEvPT_PKS3_lS6_S6_S6_PKlPKT0_S8_S6_llllllllllllS8_llb,"axG",@progbits,_ZN2at6native12_GLOBAL__N_145ctc_loss_backward_collect_nonblank_gpu_kernelIdiEEvPT_PKS3_lS6_S6_S6_PKlPKT0_S8_S6_llllllllllllS8_llb,comdat
.Lfunc_end9:
	.size	_ZN2at6native12_GLOBAL__N_145ctc_loss_backward_collect_nonblank_gpu_kernelIdiEEvPT_PKS3_lS6_S6_S6_PKlPKT0_S8_S6_llllllllllllS8_llb, .Lfunc_end9-_ZN2at6native12_GLOBAL__N_145ctc_loss_backward_collect_nonblank_gpu_kernelIdiEEvPT_PKS3_lS6_S6_S6_PKlPKT0_S8_S6_llllllllllllS8_llb
                                        ; -- End function
	.set _ZN2at6native12_GLOBAL__N_145ctc_loss_backward_collect_nonblank_gpu_kernelIdiEEvPT_PKS3_lS6_S6_S6_PKlPKT0_S8_S6_llllllllllllS8_llb.num_vgpr, 28
	.set _ZN2at6native12_GLOBAL__N_145ctc_loss_backward_collect_nonblank_gpu_kernelIdiEEvPT_PKS3_lS6_S6_S6_PKlPKT0_S8_S6_llllllllllllS8_llb.num_agpr, 0
	.set _ZN2at6native12_GLOBAL__N_145ctc_loss_backward_collect_nonblank_gpu_kernelIdiEEvPT_PKS3_lS6_S6_S6_PKlPKT0_S8_S6_llllllllllllS8_llb.numbered_sgpr, 44
	.set _ZN2at6native12_GLOBAL__N_145ctc_loss_backward_collect_nonblank_gpu_kernelIdiEEvPT_PKS3_lS6_S6_S6_PKlPKT0_S8_S6_llllllllllllS8_llb.num_named_barrier, 0
	.set _ZN2at6native12_GLOBAL__N_145ctc_loss_backward_collect_nonblank_gpu_kernelIdiEEvPT_PKS3_lS6_S6_S6_PKlPKT0_S8_S6_llllllllllllS8_llb.private_seg_size, 0
	.set _ZN2at6native12_GLOBAL__N_145ctc_loss_backward_collect_nonblank_gpu_kernelIdiEEvPT_PKS3_lS6_S6_S6_PKlPKT0_S8_S6_llllllllllllS8_llb.uses_vcc, 1
	.set _ZN2at6native12_GLOBAL__N_145ctc_loss_backward_collect_nonblank_gpu_kernelIdiEEvPT_PKS3_lS6_S6_S6_PKlPKT0_S8_S6_llllllllllllS8_llb.uses_flat_scratch, 0
	.set _ZN2at6native12_GLOBAL__N_145ctc_loss_backward_collect_nonblank_gpu_kernelIdiEEvPT_PKS3_lS6_S6_S6_PKlPKT0_S8_S6_llllllllllllS8_llb.has_dyn_sized_stack, 0
	.set _ZN2at6native12_GLOBAL__N_145ctc_loss_backward_collect_nonblank_gpu_kernelIdiEEvPT_PKS3_lS6_S6_S6_PKlPKT0_S8_S6_llllllllllllS8_llb.has_recursion, 0
	.set _ZN2at6native12_GLOBAL__N_145ctc_loss_backward_collect_nonblank_gpu_kernelIdiEEvPT_PKS3_lS6_S6_S6_PKlPKT0_S8_S6_llllllllllllS8_llb.has_indirect_call, 0
	.section	.AMDGPU.csdata,"",@progbits
; Kernel info:
; codeLenInByte = 1052
; TotalNumSgprs: 46
; NumVgprs: 28
; ScratchSize: 0
; MemoryBound: 0
; FloatMode: 240
; IeeeMode: 1
; LDSByteSize: 0 bytes/workgroup (compile time only)
; SGPRBlocks: 0
; VGPRBlocks: 1
; NumSGPRsForWavesPerEU: 46
; NumVGPRsForWavesPerEU: 28
; NamedBarCnt: 0
; Occupancy: 16
; WaveLimiterHint : 1
; COMPUTE_PGM_RSRC2:SCRATCH_EN: 0
; COMPUTE_PGM_RSRC2:USER_SGPR: 2
; COMPUTE_PGM_RSRC2:TRAP_HANDLER: 0
; COMPUTE_PGM_RSRC2:TGID_X_EN: 1
; COMPUTE_PGM_RSRC2:TGID_Y_EN: 1
; COMPUTE_PGM_RSRC2:TGID_Z_EN: 0
; COMPUTE_PGM_RSRC2:TIDIG_COMP_CNT: 1
	.section	.text._ZN2at6native12_GLOBAL__N_136ctc_loss_backward_collect_gpu_kernelIdiEEvPT_PKS3_lS6_S6_S6_PKllPKT0_S8_lS6_llllllllllllS8_llllb,"axG",@progbits,_ZN2at6native12_GLOBAL__N_136ctc_loss_backward_collect_gpu_kernelIdiEEvPT_PKS3_lS6_S6_S6_PKllPKT0_S8_lS6_llllllllllllS8_llllb,comdat
	.globl	_ZN2at6native12_GLOBAL__N_136ctc_loss_backward_collect_gpu_kernelIdiEEvPT_PKS3_lS6_S6_S6_PKllPKT0_S8_lS6_llllllllllllS8_llllb ; -- Begin function _ZN2at6native12_GLOBAL__N_136ctc_loss_backward_collect_gpu_kernelIdiEEvPT_PKS3_lS6_S6_S6_PKllPKT0_S8_lS6_llllllllllllS8_llllb
	.p2align	8
	.type	_ZN2at6native12_GLOBAL__N_136ctc_loss_backward_collect_gpu_kernelIdiEEvPT_PKS3_lS6_S6_S6_PKllPKT0_S8_lS6_llllllllllllS8_llllb,@function
_ZN2at6native12_GLOBAL__N_136ctc_loss_backward_collect_gpu_kernelIdiEEvPT_PKS3_lS6_S6_S6_PKllPKT0_S8_lS6_llllllllllllS8_llllb: ; @_ZN2at6native12_GLOBAL__N_136ctc_loss_backward_collect_gpu_kernelIdiEEvPT_PKS3_lS6_S6_S6_PKllPKT0_S8_lS6_llllllllllllS8_llllb
; %bb.0:
	s_load_b32 s4, s[0:1], 0xfc
	s_bfe_u32 s6, ttmp6, 0x4000c
	s_bfe_u32 s7, ttmp6, 0x40010
	v_mov_b32_e32 v1, 0
	s_clause 0x1
	s_load_b64 s[2:3], s[0:1], 0x38
	s_load_b256 s[20:27], s[0:1], 0xc8
	s_add_co_i32 s6, s6, 1
	s_add_co_i32 s7, s7, 1
	s_and_b32 s5, ttmp6, 15
	s_bfe_u32 s8, ttmp6, 0x40004
	s_mul_i32 s6, ttmp9, s6
	s_mul_i32 s7, ttmp7, s7
	s_getreg_b32 s9, hwreg(HW_REG_IB_STS2, 6, 4)
	v_bfe_u32 v4, v0, 10, 10
	v_and_b32_e32 v2, 0x3ff, v0
	v_mov_b32_e32 v3, v1
	s_add_co_i32 s5, s5, s6
	s_add_co_i32 s8, s8, s7
	s_wait_kmcnt 0x0
	s_lshr_b32 s6, s4, 16
	s_and_b32 s4, s4, 0xffff
	s_cmp_eq_u32 s9, 0
	s_cselect_b32 s5, ttmp9, s5
	s_cselect_b32 s7, ttmp7, s8
	v_mad_nc_u64_u32 v[2:3], s4, s5, v[2:3]
	v_mad_u32 v0, s7, s6, v4
	s_delay_alu instid0(VALU_DEP_2) | instskip(NEXT) | instid1(VALU_DEP_2)
	v_cmp_gt_i64_e32 vcc_lo, s[2:3], v[2:3]
	v_cmp_gt_i64_e64 s2, s[22:23], v[0:1]
	s_and_b32 s2, vcc_lo, s2
	s_delay_alu instid0(SALU_CYCLE_1)
	s_and_saveexec_b32 s3, s2
	s_cbranch_execz .LBB10_15
; %bb.1:
	s_clause 0x1
	s_load_b64 s[4:5], s[0:1], 0x30
	s_load_b64 s[2:3], s[0:1], 0x50
	s_mov_b64 s[22:23], 0
	s_wait_kmcnt 0x0
	v_lshl_add_u64 v[4:5], v[0:1], 3, s[4:5]
	s_load_b512 s[4:19], s[0:1], 0x60
	global_load_b64 v[4:5], v[4:5], off
	s_wait_kmcnt 0x0
	v_mul_u64_e32 v[8:9], s[6:7], v[0:1]
	v_mul_u64_e32 v[6:7], s[4:5], v[2:3]
	s_load_b64 s[4:5], s[0:1], 0x0
	v_cmp_lt_i64_e64 s6, s[2:3], 0
	s_and_b32 vcc_lo, exec_lo, s6
	s_wait_kmcnt 0x0
	v_lshl_add_u64 v[8:9], v[8:9], 3, s[4:5]
	s_cbranch_vccnz .LBB10_10
; %bb.2:
	s_clause 0x1
	s_load_b128 s[4:7], s[0:1], 0x40
	s_load_b64 s[34:35], s[0:1], 0xc0
	v_lshlrev_b64_e32 v[10:11], 3, v[0:1]
	s_load_b256 s[36:43], s[0:1], 0xa0
	v_mul_u64_e32 v[14:15], s[18:19], v[2:3]
	s_load_b128 s[28:31], s[0:1], 0x18
	s_lshl_b64 s[18:19], s[2:3], 1
	s_wait_kmcnt 0x0
	s_delay_alu instid0(VALU_DEP_2)
	v_add_nc_u64_e32 v[12:13], s[6:7], v[10:11]
	v_add_nc_u64_e32 v[10:11], s[34:35], v[10:11]
	s_mov_b64 s[6:7], 0x3fe5555555555555
	v_mul_u64_e32 v[20:21], s[38:39], v[0:1]
	v_mul_u64_e32 v[22:23], s[40:41], v[2:3]
	global_load_b64 v[16:17], v[12:13], off
	global_load_b64 v[18:19], v[10:11], off
	s_wait_xcnt 0x0
	v_mul_u64_e32 v[10:11], s[16:17], v[0:1]
	v_mov_b64_e32 v[12:13], 0x3fc385386b47b09a
	s_mov_b64 s[16:17], 0x3fe62e42fefa39ef
	v_lshl_add_u64 v[20:21], v[20:21], 3, s[30:31]
	s_lshl_b64 s[30:31], s[42:43], 3
	s_delay_alu instid0(VALU_DEP_1) | instskip(NEXT) | instid1(VALU_DEP_4)
	v_lshl_add_u64 v[20:21], v[22:23], 3, v[20:21]
	v_lshl_add_u64 v[24:25], v[10:11], 3, s[28:29]
	v_mov_b64_e32 v[10:11], 0x3e928af3fca7ab0c
	v_lshl_add_u64 v[22:23], v[6:7], 3, v[8:9]
	s_lshl_b64 s[28:29], s[36:37], 3
	s_delay_alu instid0(VALU_DEP_3)
	v_lshl_add_u64 v[14:15], v[14:15], 3, v[24:25]
                                        ; implicit-def: $vgpr24_vgpr25
                                        ; implicit-def: $vgpr24_vgpr25
	;; [unrolled: 1-line block ×13, first 2 shown]
	s_wait_loadcnt 0x1
	v_lshlrev_b64_e32 v[16:17], 1, v[16:17]
	s_wait_loadcnt 0x0
	v_lshl_add_u64 v[18:19], v[18:19], 2, s[4:5]
	s_branch .LBB10_5
.LBB10_3:                               ;   in Loop: Header=BB10_5 Depth=1
	s_or_b32 exec_lo, exec_lo, s33
	global_store_b64 v[24:25], v[28:29], off
.LBB10_4:                               ;   in Loop: Header=BB10_5 Depth=1
	s_wait_xcnt 0x0
	s_or_b32 exec_lo, exec_lo, s5
	s_add_nc_u64 s[22:23], s[22:23], 1
	v_add_nc_u64_e32 v[14:15], s[28:29], v[14:15]
	v_cmp_lt_i64_e64 s2, s[18:19], s[22:23]
	v_add_nc_u64_e32 v[20:21], s[30:31], v[20:21]
	s_and_b32 vcc_lo, exec_lo, s2
	s_cbranch_vccnz .LBB10_10
.LBB10_5:                               ; =>This Inner Loop Header: Depth=1
	s_mov_b32 s5, exec_lo
	s_delay_alu instid0(VALU_DEP_2)
	v_cmpx_le_i64_e64 s[22:23], v[16:17]
	s_cbranch_execz .LBB10_4
; %bb.6:                                ;   in Loop: Header=BB10_5 Depth=1
	v_mov_b64_e32 v[24:25], s[26:27]
	s_bitcmp0_b64 s[22:23], 0
	s_cbranch_scc1 .LBB10_8
; %bb.7:                                ;   in Loop: Header=BB10_5 Depth=1
	s_lshr_b64 s[2:3], s[22:23], 1
	s_delay_alu instid0(SALU_CYCLE_1) | instskip(NEXT) | instid1(SALU_CYCLE_1)
	s_mul_u64 s[2:3], s[20:21], s[2:3]
	v_lshl_add_u64 v[24:25], s[2:3], 2, v[18:19]
	global_load_b32 v24, v[24:25], off
	s_wait_loadcnt 0x0
	s_wait_xcnt 0x0
	v_ashrrev_i32_e32 v25, 31, v24
.LBB10_8:                               ;   in Loop: Header=BB10_5 Depth=1
	s_delay_alu instid0(VALU_DEP_1) | instskip(SKIP_1) | instid1(VALU_DEP_1)
	v_mul_u64_e32 v[24:25], s[8:9], v[24:25]
	s_mov_b32 s33, exec_lo
	v_lshl_add_u64 v[24:25], v[24:25], 3, v[22:23]
	global_load_b64 v[26:27], v[14:15], off
	global_load_b64 v[28:29], v[20:21], off
	;; [unrolled: 1-line block ×3, first 2 shown]
	s_wait_loadcnt 0x1
	v_add_f64_e32 v[28:29], v[26:27], v[28:29]
	s_wait_loadcnt 0x0
	s_wait_xcnt 0x0
	v_cmpx_neq_f64_e32 0xfff00000, v[30:31]
	s_cbranch_execz .LBB10_3
; %bb.9:                                ;   in Loop: Header=BB10_5 Depth=1
	s_delay_alu instid0(VALU_DEP_2) | instskip(SKIP_1) | instid1(VALU_DEP_1)
	v_cmp_gt_f64_e32 vcc_lo, v[30:31], v[28:29]
	v_dual_cndmask_b32 v27, v29, v31 :: v_dual_cndmask_b32 v26, v28, v30
	v_add_f64_e64 v[30:31], v[30:31], -v[26:27]
	v_add_f64_e64 v[28:29], v[28:29], -v[26:27]
	s_delay_alu instid0(VALU_DEP_2) | instskip(NEXT) | instid1(VALU_DEP_2)
	v_mul_f64_e32 v[32:33], 0x3ff71547652b82fe, v[30:31]
	v_mul_f64_e32 v[34:35], 0x3ff71547652b82fe, v[28:29]
	v_cmp_nlt_f64_e64 s3, 0x40900000, v[28:29]
	v_cmp_nlt_f64_e32 vcc_lo, 0x40900000, v[30:31]
	v_cmp_ngt_f64_e64 s2, 0xc090cc00, v[30:31]
	v_cmp_ngt_f64_e64 s4, 0xc090cc00, v[28:29]
	v_rndne_f64_e32 v[32:33], v[32:33]
	v_rndne_f64_e32 v[34:35], v[34:35]
	s_delay_alu instid0(VALU_DEP_2) | instskip(NEXT) | instid1(VALU_DEP_2)
	v_fmamk_f64 v[36:37], v[32:33], 0xbfe62e42fefa39ef, v[30:31]
	v_fmamk_f64 v[38:39], v[34:35], 0xbfe62e42fefa39ef, v[28:29]
	v_cvt_i32_f64_e32 v44, v[32:33]
	s_delay_alu instid0(VALU_DEP_3) | instskip(NEXT) | instid1(VALU_DEP_3)
	v_fmac_f64_e32 v[36:37], 0xbc7abc9e3b39803f, v[32:33]
	v_fmac_f64_e32 v[38:39], 0xbc7abc9e3b39803f, v[34:35]
	s_delay_alu instid0(VALU_DEP_2) | instskip(NEXT) | instid1(VALU_DEP_2)
	v_fmamk_f64 v[40:41], v[36:37], 0x3e5ade156a5dcb37, v[10:11]
	v_fmamk_f64 v[42:43], v[38:39], 0x3e5ade156a5dcb37, v[10:11]
	s_delay_alu instid0(VALU_DEP_2) | instskip(NEXT) | instid1(VALU_DEP_2)
	v_fmaak_f64 v[40:41], v[36:37], v[40:41], 0x3ec71dee623fde64
	v_fmaak_f64 v[42:43], v[38:39], v[42:43], 0x3ec71dee623fde64
	s_delay_alu instid0(VALU_DEP_2) | instskip(NEXT) | instid1(VALU_DEP_2)
	v_fmaak_f64 v[40:41], v[36:37], v[40:41], 0x3efa01997c89e6b0
	v_fmaak_f64 v[42:43], v[38:39], v[42:43], 0x3efa01997c89e6b0
	;; [unrolled: 3-line block ×8, first 2 shown]
	s_delay_alu instid0(VALU_DEP_2) | instskip(NEXT) | instid1(VALU_DEP_2)
	v_fma_f64 v[40:41], v[36:37], v[40:41], 1.0
	v_fma_f64 v[42:43], v[38:39], v[42:43], 1.0
	s_delay_alu instid0(VALU_DEP_2) | instskip(SKIP_1) | instid1(VALU_DEP_3)
	v_fma_f64 v[32:33], v[36:37], v[40:41], 1.0
	v_cvt_i32_f64_e32 v36, v[34:35]
	v_fma_f64 v[34:35], v[38:39], v[42:43], 1.0
	s_delay_alu instid0(VALU_DEP_3) | instskip(NEXT) | instid1(VALU_DEP_2)
	v_ldexp_f64 v[32:33], v[32:33], v44
	v_ldexp_f64 v[34:35], v[34:35], v36
	s_delay_alu instid0(VALU_DEP_2) | instskip(SKIP_1) | instid1(VALU_DEP_2)
	v_cndmask_b32_e32 v33, 0x7ff00000, v33, vcc_lo
	s_and_b32 vcc_lo, s2, vcc_lo
	v_cndmask_b32_e64 v30, 0x7ff00000, v35, s3
	s_delay_alu instid0(VALU_DEP_4) | instskip(SKIP_1) | instid1(VALU_DEP_2)
	v_cndmask_b32_e32 v28, 0, v32, vcc_lo
	s_and_b32 vcc_lo, s4, s3
	v_dual_cndmask_b32 v29, 0, v33, s2 :: v_dual_cndmask_b32 v31, 0, v30, s4
	v_cndmask_b32_e32 v30, 0, v34, vcc_lo
	s_delay_alu instid0(VALU_DEP_1) | instskip(NEXT) | instid1(VALU_DEP_1)
	v_add_f64_e32 v[28:29], v[28:29], v[30:31]
	v_frexp_mant_f64_e32 v[30:31], v[28:29]
	s_delay_alu instid0(VALU_DEP_1) | instskip(SKIP_1) | instid1(VALU_DEP_1)
	v_cmp_gt_f64_e32 vcc_lo, s[6:7], v[30:31]
	v_cndmask_b32_e64 v32, 0, 1, vcc_lo
	v_ldexp_f64 v[30:31], v[30:31], v32
	s_delay_alu instid0(VALU_DEP_1) | instskip(SKIP_1) | instid1(VALU_DEP_2)
	v_add_f64_e32 v[32:33], 1.0, v[30:31]
	v_add_f64_e32 v[38:39], -1.0, v[30:31]
	v_rcp_f64_e32 v[34:35], v[32:33]
	v_add_f64_e32 v[40:41], -1.0, v[32:33]
	s_delay_alu instid0(VALU_DEP_1) | instskip(NEXT) | instid1(TRANS32_DEP_1)
	v_add_f64_e64 v[30:31], v[30:31], -v[40:41]
	v_fma_f64 v[36:37], -v[32:33], v[34:35], 1.0
	s_delay_alu instid0(VALU_DEP_1) | instskip(NEXT) | instid1(VALU_DEP_1)
	v_fmac_f64_e32 v[34:35], v[36:37], v[34:35]
	v_fma_f64 v[36:37], -v[32:33], v[34:35], 1.0
	s_delay_alu instid0(VALU_DEP_1) | instskip(NEXT) | instid1(VALU_DEP_1)
	v_fmac_f64_e32 v[34:35], v[36:37], v[34:35]
	v_mul_f64_e32 v[36:37], v[38:39], v[34:35]
	s_delay_alu instid0(VALU_DEP_1) | instskip(NEXT) | instid1(VALU_DEP_1)
	v_mul_f64_e32 v[42:43], v[32:33], v[36:37]
	v_fma_f64 v[32:33], v[36:37], v[32:33], -v[42:43]
	s_delay_alu instid0(VALU_DEP_1) | instskip(NEXT) | instid1(VALU_DEP_1)
	v_fmac_f64_e32 v[32:33], v[36:37], v[30:31]
	v_add_f64_e32 v[30:31], v[42:43], v[32:33]
	s_delay_alu instid0(VALU_DEP_1) | instskip(SKIP_1) | instid1(VALU_DEP_2)
	v_add_f64_e64 v[40:41], v[38:39], -v[30:31]
	v_add_f64_e64 v[42:43], v[30:31], -v[42:43]
	;; [unrolled: 1-line block ×3, first 2 shown]
	s_delay_alu instid0(VALU_DEP_2) | instskip(SKIP_1) | instid1(VALU_DEP_3)
	v_add_f64_e64 v[32:33], v[42:43], -v[32:33]
	v_frexp_exp_i32_f64_e32 v42, v[28:29]
	v_add_f64_e64 v[30:31], v[38:39], -v[30:31]
	s_delay_alu instid0(VALU_DEP_1) | instskip(NEXT) | instid1(VALU_DEP_1)
	v_add_f64_e32 v[30:31], v[32:33], v[30:31]
	v_add_f64_e32 v[30:31], v[40:41], v[30:31]
	s_delay_alu instid0(VALU_DEP_1) | instskip(NEXT) | instid1(VALU_DEP_1)
	v_mul_f64_e32 v[30:31], v[34:35], v[30:31]
	v_add_f64_e32 v[32:33], v[36:37], v[30:31]
	s_delay_alu instid0(VALU_DEP_1) | instskip(NEXT) | instid1(VALU_DEP_1)
	v_mul_f64_e32 v[34:35], v[32:33], v[32:33]
	v_fmamk_f64 v[38:39], v[34:35], 0x3fc3ab76bf559e2b, v[12:13]
	v_mul_f64_e32 v[40:41], v[32:33], v[34:35]
	s_delay_alu instid0(VALU_DEP_2) | instskip(NEXT) | instid1(VALU_DEP_1)
	v_fmaak_f64 v[38:39], v[34:35], v[38:39], 0x3fc7474dd7f4df2e
	v_fmaak_f64 v[38:39], v[34:35], v[38:39], 0x3fcc71c016291751
	s_delay_alu instid0(VALU_DEP_1) | instskip(NEXT) | instid1(VALU_DEP_1)
	v_fmaak_f64 v[38:39], v[34:35], v[38:39], 0x3fd249249b27acf1
	v_fmaak_f64 v[38:39], v[34:35], v[38:39], 0x3fd99999998ef7b6
	s_delay_alu instid0(VALU_DEP_1) | instskip(SKIP_2) | instid1(VALU_DEP_3)
	v_fmaak_f64 v[34:35], v[34:35], v[38:39], 0x3fe5555555555780
	v_ldexp_f64 v[38:39], v[32:33], 1
	v_add_f64_e64 v[32:33], v[32:33], -v[36:37]
	v_mul_f64_e32 v[34:35], v[40:41], v[34:35]
	v_subrev_co_ci_u32_e64 v40, null, 0, v42, vcc_lo
	v_cmp_class_f64_e64 vcc_lo, v[28:29], 0x204
	s_delay_alu instid0(VALU_DEP_2) | instskip(SKIP_2) | instid1(VALU_DEP_3)
	v_cvt_f64_i32_e32 v[40:41], v40
	v_add_f64_e64 v[30:31], v[30:31], -v[32:33]
	v_add_f64_e32 v[36:37], v[38:39], v[34:35]
	v_mul_f64_e32 v[42:43], 0x3fe62e42fefa39ef, v[40:41]
	s_delay_alu instid0(VALU_DEP_3) | instskip(NEXT) | instid1(VALU_DEP_3)
	v_ldexp_f64 v[30:31], v[30:31], 1
	v_add_f64_e64 v[32:33], v[36:37], -v[38:39]
	s_delay_alu instid0(VALU_DEP_3) | instskip(NEXT) | instid1(VALU_DEP_2)
	v_fma_f64 v[38:39], v[40:41], s[16:17], -v[42:43]
	v_add_f64_e64 v[32:33], v[34:35], -v[32:33]
	s_delay_alu instid0(VALU_DEP_2) | instskip(NEXT) | instid1(VALU_DEP_2)
	v_fmac_f64_e32 v[38:39], 0x3c7abc9e3b39803f, v[40:41]
	v_add_f64_e32 v[30:31], v[30:31], v[32:33]
	s_delay_alu instid0(VALU_DEP_2) | instskip(NEXT) | instid1(VALU_DEP_2)
	v_add_f64_e32 v[32:33], v[42:43], v[38:39]
	v_add_f64_e32 v[34:35], v[36:37], v[30:31]
	s_delay_alu instid0(VALU_DEP_2) | instskip(NEXT) | instid1(VALU_DEP_2)
	v_add_f64_e64 v[42:43], v[32:33], -v[42:43]
	v_add_f64_e32 v[40:41], v[32:33], v[34:35]
	v_add_f64_e64 v[36:37], v[34:35], -v[36:37]
	s_delay_alu instid0(VALU_DEP_3) | instskip(NEXT) | instid1(VALU_DEP_3)
	v_add_f64_e64 v[38:39], v[38:39], -v[42:43]
	v_add_f64_e64 v[44:45], v[40:41], -v[32:33]
	s_delay_alu instid0(VALU_DEP_3) | instskip(NEXT) | instid1(VALU_DEP_2)
	v_add_f64_e64 v[30:31], v[30:31], -v[36:37]
	v_add_f64_e64 v[46:47], v[40:41], -v[44:45]
	;; [unrolled: 1-line block ×3, first 2 shown]
	s_delay_alu instid0(VALU_DEP_3) | instskip(NEXT) | instid1(VALU_DEP_3)
	v_add_f64_e32 v[36:37], v[38:39], v[30:31]
	v_add_f64_e64 v[32:33], v[32:33], -v[46:47]
	s_delay_alu instid0(VALU_DEP_1) | instskip(NEXT) | instid1(VALU_DEP_3)
	v_add_f64_e32 v[32:33], v[34:35], v[32:33]
	v_add_f64_e64 v[34:35], v[36:37], -v[38:39]
	s_delay_alu instid0(VALU_DEP_2) | instskip(NEXT) | instid1(VALU_DEP_2)
	v_add_f64_e32 v[32:33], v[36:37], v[32:33]
	v_add_f64_e64 v[36:37], v[36:37], -v[34:35]
	v_add_f64_e64 v[30:31], v[30:31], -v[34:35]
	s_delay_alu instid0(VALU_DEP_3) | instskip(NEXT) | instid1(VALU_DEP_3)
	v_add_f64_e32 v[42:43], v[40:41], v[32:33]
	v_add_f64_e64 v[34:35], v[38:39], -v[36:37]
	s_delay_alu instid0(VALU_DEP_2) | instskip(NEXT) | instid1(VALU_DEP_2)
	v_add_f64_e64 v[36:37], v[42:43], -v[40:41]
	v_add_f64_e32 v[30:31], v[30:31], v[34:35]
	s_delay_alu instid0(VALU_DEP_2) | instskip(NEXT) | instid1(VALU_DEP_1)
	v_add_f64_e64 v[32:33], v[32:33], -v[36:37]
	v_add_f64_e32 v[30:31], v[30:31], v[32:33]
	s_delay_alu instid0(VALU_DEP_1) | instskip(NEXT) | instid1(VALU_DEP_1)
	v_add_f64_e32 v[30:31], v[42:43], v[30:31]
	v_dual_cndmask_b32 v30, v30, v28 :: v_dual_cndmask_b32 v31, v31, v29
	v_cmp_ngt_f64_e32 vcc_lo, 0, v[28:29]
	s_delay_alu instid0(VALU_DEP_2) | instskip(SKIP_1) | instid1(VALU_DEP_4)
	v_cndmask_b32_e32 v31, 0x7ff80000, v31, vcc_lo
	v_cmp_nge_f64_e32 vcc_lo, 0, v[28:29]
	v_cndmask_b32_e32 v30, 0, v30, vcc_lo
	v_cmp_neq_f64_e32 vcc_lo, 0, v[28:29]
	s_delay_alu instid0(VALU_DEP_4) | instskip(NEXT) | instid1(VALU_DEP_1)
	v_cndmask_b32_e32 v31, 0xfff00000, v31, vcc_lo
	v_add_f64_e32 v[28:29], v[26:27], v[30:31]
	s_branch .LBB10_3
.LBB10_10:
	v_cmp_lt_i64_e64 s2, s[24:25], 1
	s_and_b32 vcc_lo, exec_lo, s2
	s_cbranch_vccnz .LBB10_15
; %bb.11:
	s_clause 0x2
	s_load_b64 s[2:3], s[0:1], 0x58
	s_load_b128 s[4:7], s[0:1], 0x8
	s_load_b32 s16, s[0:1], 0xe8
	v_mul_u64_e32 v[14:15], s[12:13], v[0:1]
	v_mul_u64_e32 v[16:17], s[10:11], v[2:3]
	s_wait_xcnt 0x0
	s_load_b64 s[0:1], s[0:1], 0x28
	s_wait_kmcnt 0x0
	v_lshl_add_u64 v[10:11], v[0:1], 3, s[2:3]
	v_mul_u64_e32 v[12:13], s[6:7], v[0:1]
	v_lshl_add_u64 v[0:1], v[6:7], 3, v[8:9]
	s_bitcmp1_b32 s16, 0
	global_load_b64 v[10:11], v[10:11], off
	v_lshl_add_u64 v[6:7], v[14:15], 3, s[0:1]
	s_wait_loadcnt 0x1
	v_cmp_lt_i64_e64 s0, v[2:3], v[4:5]
	s_cselect_b32 s1, -1, 0
	v_mov_b64_e32 v[2:3], 0x3e928af3fca7ab0c
	s_xor_b32 s1, s1, -1
	v_lshl_add_u64 v[4:5], v[16:17], 3, v[6:7]
	s_lshl_b64 s[6:7], s[8:9], 3
                                        ; implicit-def: $vgpr6_vgpr7
                                        ; implicit-def: $vgpr6_vgpr7
	;; [unrolled: 1-line block ×8, first 2 shown]
	v_lshl_add_u64 v[12:13], v[12:13], 3, s[4:5]
	s_lshl_b64 s[4:5], s[14:15], 3
	global_load_b64 v[12:13], v[12:13], off
	s_wait_loadcnt 0x1
	v_cmp_neq_f64_e32 vcc_lo, 0x7ff00000, v[10:11]
	s_or_b32 s1, s1, vcc_lo
	s_delay_alu instid0(SALU_CYCLE_1)
	s_and_b32 s3, s0, s1
	s_branch .LBB10_13
.LBB10_12:                              ;   in Loop: Header=BB10_13 Depth=1
	s_wait_xcnt 0x0
	s_or_b32 exec_lo, exec_lo, s8
	global_store_b64 v[0:1], v[6:7], off
	v_add_nc_u64_e32 v[4:5], s[4:5], v[4:5]
	s_wait_xcnt 0x0
	v_add_nc_u64_e32 v[0:1], s[6:7], v[0:1]
	s_add_nc_u64 s[24:25], s[24:25], -1
	s_delay_alu instid0(SALU_CYCLE_1)
	s_cmp_lg_u64 s[24:25], 0
	s_cbranch_scc0 .LBB10_15
.LBB10_13:                              ; =>This Inner Loop Header: Depth=1
	v_mov_b64_e32 v[6:7], 0
	s_wait_xcnt 0x0
	s_and_saveexec_b32 s8, s3
	s_cbranch_execz .LBB10_12
; %bb.14:                               ;   in Loop: Header=BB10_13 Depth=1
	global_load_b64 v[6:7], v[0:1], off
	global_load_b64 v[8:9], v[4:5], off
	s_wait_loadcnt 0x1
	v_add_f64_e32 v[6:7], v[10:11], v[6:7]
	s_wait_loadcnt 0x0
	v_mul_f64_e32 v[14:15], 0x3ff71547652b82fe, v[8:9]
	v_cmp_nlt_f64_e32 vcc_lo, 0x40900000, v[8:9]
	v_cmp_ngt_f64_e64 s0, 0xc090cc00, v[8:9]
	s_delay_alu instid0(VALU_DEP_4) | instskip(NEXT) | instid1(VALU_DEP_4)
	v_add_f64_e64 v[6:7], v[6:7], -v[8:9]
	v_rndne_f64_e32 v[14:15], v[14:15]
	s_delay_alu instid0(VALU_DEP_2) | instskip(NEXT) | instid1(VALU_DEP_2)
	v_mul_f64_e32 v[16:17], 0x3ff71547652b82fe, v[6:7]
	v_fmamk_f64 v[18:19], v[14:15], 0xbfe62e42fefa39ef, v[8:9]
	v_cvt_i32_f64_e32 v26, v[14:15]
	v_cmp_nlt_f64_e64 s1, 0x40900000, v[6:7]
	v_cmp_ngt_f64_e64 s2, 0xc090cc00, v[6:7]
	s_delay_alu instid0(VALU_DEP_4) | instskip(SKIP_1) | instid1(VALU_DEP_2)
	v_fmac_f64_e32 v[18:19], 0xbc7abc9e3b39803f, v[14:15]
	v_rndne_f64_e32 v[16:17], v[16:17]
	v_fmamk_f64 v[22:23], v[18:19], 0x3e5ade156a5dcb37, v[2:3]
	s_delay_alu instid0(VALU_DEP_1) | instskip(NEXT) | instid1(VALU_DEP_1)
	v_fmaak_f64 v[22:23], v[18:19], v[22:23], 0x3ec71dee623fde64
	v_fmaak_f64 v[22:23], v[18:19], v[22:23], 0x3efa01997c89e6b0
	s_delay_alu instid0(VALU_DEP_1) | instskip(SKIP_1) | instid1(VALU_DEP_2)
	v_fmaak_f64 v[22:23], v[18:19], v[22:23], 0x3f2a01a014761f6e
	v_fmamk_f64 v[20:21], v[16:17], 0xbfe62e42fefa39ef, v[6:7]
	v_fmaak_f64 v[22:23], v[18:19], v[22:23], 0x3f56c16c1852b7b0
	s_delay_alu instid0(VALU_DEP_2) | instskip(NEXT) | instid1(VALU_DEP_2)
	v_fmac_f64_e32 v[20:21], 0xbc7abc9e3b39803f, v[16:17]
	v_fmaak_f64 v[22:23], v[18:19], v[22:23], 0x3f81111111122322
	s_delay_alu instid0(VALU_DEP_1) | instskip(NEXT) | instid1(VALU_DEP_1)
	v_fmaak_f64 v[22:23], v[18:19], v[22:23], 0x3fa55555555502a1
	v_fmaak_f64 v[22:23], v[18:19], v[22:23], 0x3fc5555555555511
	s_delay_alu instid0(VALU_DEP_1) | instskip(SKIP_1) | instid1(VALU_DEP_2)
	v_fmaak_f64 v[22:23], v[18:19], v[22:23], 0x3fe000000000000b
	v_fmamk_f64 v[24:25], v[20:21], 0x3e5ade156a5dcb37, v[2:3]
	v_fma_f64 v[22:23], v[18:19], v[22:23], 1.0
	s_delay_alu instid0(VALU_DEP_2) | instskip(NEXT) | instid1(VALU_DEP_1)
	v_fmaak_f64 v[24:25], v[20:21], v[24:25], 0x3ec71dee623fde64
	v_fmaak_f64 v[24:25], v[20:21], v[24:25], 0x3efa01997c89e6b0
	s_delay_alu instid0(VALU_DEP_1) | instskip(NEXT) | instid1(VALU_DEP_1)
	v_fmaak_f64 v[24:25], v[20:21], v[24:25], 0x3f2a01a014761f6e
	v_fmaak_f64 v[24:25], v[20:21], v[24:25], 0x3f56c16c1852b7b0
	v_fma_f64 v[14:15], v[18:19], v[22:23], 1.0
	v_cvt_i32_f64_e32 v18, v[16:17]
	s_delay_alu instid0(VALU_DEP_3) | instskip(NEXT) | instid1(VALU_DEP_1)
	v_fmaak_f64 v[24:25], v[20:21], v[24:25], 0x3f81111111122322
	v_fmaak_f64 v[24:25], v[20:21], v[24:25], 0x3fa55555555502a1
	s_delay_alu instid0(VALU_DEP_1) | instskip(NEXT) | instid1(VALU_DEP_1)
	v_fmaak_f64 v[24:25], v[20:21], v[24:25], 0x3fc5555555555511
	v_fmaak_f64 v[24:25], v[20:21], v[24:25], 0x3fe000000000000b
	s_delay_alu instid0(VALU_DEP_1) | instskip(SKIP_1) | instid1(VALU_DEP_2)
	v_fma_f64 v[24:25], v[20:21], v[24:25], 1.0
	v_ldexp_f64 v[14:15], v[14:15], v26
	v_fma_f64 v[16:17], v[20:21], v[24:25], 1.0
	s_delay_alu instid0(VALU_DEP_2) | instskip(SKIP_1) | instid1(VALU_DEP_3)
	v_cndmask_b32_e32 v15, 0x7ff00000, v15, vcc_lo
	s_and_b32 vcc_lo, s0, vcc_lo
	v_cndmask_b32_e32 v6, 0, v14, vcc_lo
	s_and_b32 vcc_lo, s2, s1
	s_delay_alu instid0(VALU_DEP_2) | instskip(NEXT) | instid1(VALU_DEP_4)
	v_cndmask_b32_e64 v7, 0, v15, s0
	v_ldexp_f64 v[16:17], v[16:17], v18
	s_delay_alu instid0(VALU_DEP_1) | instskip(NEXT) | instid1(VALU_DEP_1)
	v_cndmask_b32_e64 v8, 0x7ff00000, v17, s1
	v_cndmask_b32_e64 v9, 0, v8, s2
	s_delay_alu instid0(VALU_DEP_3) | instskip(NEXT) | instid1(VALU_DEP_1)
	v_cndmask_b32_e32 v8, 0, v16, vcc_lo
	v_add_f64_e64 v[6:7], v[6:7], -v[8:9]
	s_delay_alu instid0(VALU_DEP_1)
	v_mul_f64_e32 v[6:7], v[12:13], v[6:7]
	s_branch .LBB10_12
.LBB10_15:
	s_endpgm
	.section	.rodata,"a",@progbits
	.p2align	6, 0x0
	.amdhsa_kernel _ZN2at6native12_GLOBAL__N_136ctc_loss_backward_collect_gpu_kernelIdiEEvPT_PKS3_lS6_S6_S6_PKllPKT0_S8_lS6_llllllllllllS8_llllb
		.amdhsa_group_segment_fixed_size 0
		.amdhsa_private_segment_fixed_size 0
		.amdhsa_kernarg_size 496
		.amdhsa_user_sgpr_count 2
		.amdhsa_user_sgpr_dispatch_ptr 0
		.amdhsa_user_sgpr_queue_ptr 0
		.amdhsa_user_sgpr_kernarg_segment_ptr 1
		.amdhsa_user_sgpr_dispatch_id 0
		.amdhsa_user_sgpr_kernarg_preload_length 0
		.amdhsa_user_sgpr_kernarg_preload_offset 0
		.amdhsa_user_sgpr_private_segment_size 0
		.amdhsa_wavefront_size32 1
		.amdhsa_uses_dynamic_stack 0
		.amdhsa_enable_private_segment 0
		.amdhsa_system_sgpr_workgroup_id_x 1
		.amdhsa_system_sgpr_workgroup_id_y 1
		.amdhsa_system_sgpr_workgroup_id_z 0
		.amdhsa_system_sgpr_workgroup_info 0
		.amdhsa_system_vgpr_workitem_id 1
		.amdhsa_next_free_vgpr 48
		.amdhsa_next_free_sgpr 44
		.amdhsa_named_barrier_count 0
		.amdhsa_reserve_vcc 1
		.amdhsa_float_round_mode_32 0
		.amdhsa_float_round_mode_16_64 0
		.amdhsa_float_denorm_mode_32 3
		.amdhsa_float_denorm_mode_16_64 3
		.amdhsa_fp16_overflow 0
		.amdhsa_memory_ordered 1
		.amdhsa_forward_progress 1
		.amdhsa_inst_pref_size 23
		.amdhsa_round_robin_scheduling 0
		.amdhsa_exception_fp_ieee_invalid_op 0
		.amdhsa_exception_fp_denorm_src 0
		.amdhsa_exception_fp_ieee_div_zero 0
		.amdhsa_exception_fp_ieee_overflow 0
		.amdhsa_exception_fp_ieee_underflow 0
		.amdhsa_exception_fp_ieee_inexact 0
		.amdhsa_exception_int_div_zero 0
	.end_amdhsa_kernel
	.section	.text._ZN2at6native12_GLOBAL__N_136ctc_loss_backward_collect_gpu_kernelIdiEEvPT_PKS3_lS6_S6_S6_PKllPKT0_S8_lS6_llllllllllllS8_llllb,"axG",@progbits,_ZN2at6native12_GLOBAL__N_136ctc_loss_backward_collect_gpu_kernelIdiEEvPT_PKS3_lS6_S6_S6_PKllPKT0_S8_lS6_llllllllllllS8_llllb,comdat
.Lfunc_end10:
	.size	_ZN2at6native12_GLOBAL__N_136ctc_loss_backward_collect_gpu_kernelIdiEEvPT_PKS3_lS6_S6_S6_PKllPKT0_S8_lS6_llllllllllllS8_llllb, .Lfunc_end10-_ZN2at6native12_GLOBAL__N_136ctc_loss_backward_collect_gpu_kernelIdiEEvPT_PKS3_lS6_S6_S6_PKllPKT0_S8_lS6_llllllllllllS8_llllb
                                        ; -- End function
	.set _ZN2at6native12_GLOBAL__N_136ctc_loss_backward_collect_gpu_kernelIdiEEvPT_PKS3_lS6_S6_S6_PKllPKT0_S8_lS6_llllllllllllS8_llllb.num_vgpr, 48
	.set _ZN2at6native12_GLOBAL__N_136ctc_loss_backward_collect_gpu_kernelIdiEEvPT_PKS3_lS6_S6_S6_PKllPKT0_S8_lS6_llllllllllllS8_llllb.num_agpr, 0
	.set _ZN2at6native12_GLOBAL__N_136ctc_loss_backward_collect_gpu_kernelIdiEEvPT_PKS3_lS6_S6_S6_PKllPKT0_S8_lS6_llllllllllllS8_llllb.numbered_sgpr, 44
	.set _ZN2at6native12_GLOBAL__N_136ctc_loss_backward_collect_gpu_kernelIdiEEvPT_PKS3_lS6_S6_S6_PKllPKT0_S8_lS6_llllllllllllS8_llllb.num_named_barrier, 0
	.set _ZN2at6native12_GLOBAL__N_136ctc_loss_backward_collect_gpu_kernelIdiEEvPT_PKS3_lS6_S6_S6_PKllPKT0_S8_lS6_llllllllllllS8_llllb.private_seg_size, 0
	.set _ZN2at6native12_GLOBAL__N_136ctc_loss_backward_collect_gpu_kernelIdiEEvPT_PKS3_lS6_S6_S6_PKllPKT0_S8_lS6_llllllllllllS8_llllb.uses_vcc, 1
	.set _ZN2at6native12_GLOBAL__N_136ctc_loss_backward_collect_gpu_kernelIdiEEvPT_PKS3_lS6_S6_S6_PKllPKT0_S8_lS6_llllllllllllS8_llllb.uses_flat_scratch, 0
	.set _ZN2at6native12_GLOBAL__N_136ctc_loss_backward_collect_gpu_kernelIdiEEvPT_PKS3_lS6_S6_S6_PKllPKT0_S8_lS6_llllllllllllS8_llllb.has_dyn_sized_stack, 0
	.set _ZN2at6native12_GLOBAL__N_136ctc_loss_backward_collect_gpu_kernelIdiEEvPT_PKS3_lS6_S6_S6_PKllPKT0_S8_lS6_llllllllllllS8_llllb.has_recursion, 0
	.set _ZN2at6native12_GLOBAL__N_136ctc_loss_backward_collect_gpu_kernelIdiEEvPT_PKS3_lS6_S6_S6_PKllPKT0_S8_lS6_llllllllllllS8_llllb.has_indirect_call, 0
	.section	.AMDGPU.csdata,"",@progbits
; Kernel info:
; codeLenInByte = 2820
; TotalNumSgprs: 46
; NumVgprs: 48
; ScratchSize: 0
; MemoryBound: 0
; FloatMode: 240
; IeeeMode: 1
; LDSByteSize: 0 bytes/workgroup (compile time only)
; SGPRBlocks: 0
; VGPRBlocks: 2
; NumSGPRsForWavesPerEU: 46
; NumVGPRsForWavesPerEU: 48
; NamedBarCnt: 0
; Occupancy: 16
; WaveLimiterHint : 1
; COMPUTE_PGM_RSRC2:SCRATCH_EN: 0
; COMPUTE_PGM_RSRC2:USER_SGPR: 2
; COMPUTE_PGM_RSRC2:TRAP_HANDLER: 0
; COMPUTE_PGM_RSRC2:TGID_X_EN: 1
; COMPUTE_PGM_RSRC2:TGID_Y_EN: 1
; COMPUTE_PGM_RSRC2:TGID_Z_EN: 0
; COMPUTE_PGM_RSRC2:TIDIG_COMP_CNT: 1
	.section	.text._ZN2at6native12_GLOBAL__N_137ctc_loss_backward_log_beta_gpu_kernelIflEEvPT_PKS3_PKllPKT0_S8_lllllllS8_lll,"axG",@progbits,_ZN2at6native12_GLOBAL__N_137ctc_loss_backward_log_beta_gpu_kernelIflEEvPT_PKS3_PKllPKT0_S8_lllllllS8_lll,comdat
	.globl	_ZN2at6native12_GLOBAL__N_137ctc_loss_backward_log_beta_gpu_kernelIflEEvPT_PKS3_PKllPKT0_S8_lllllllS8_lll ; -- Begin function _ZN2at6native12_GLOBAL__N_137ctc_loss_backward_log_beta_gpu_kernelIflEEvPT_PKS3_PKllPKT0_S8_lllllllS8_lll
	.p2align	8
	.type	_ZN2at6native12_GLOBAL__N_137ctc_loss_backward_log_beta_gpu_kernelIflEEvPT_PKS3_PKllPKT0_S8_lllllllS8_lll,@function
_ZN2at6native12_GLOBAL__N_137ctc_loss_backward_log_beta_gpu_kernelIflEEvPT_PKS3_PKllPKT0_S8_lllllllS8_lll: ; @_ZN2at6native12_GLOBAL__N_137ctc_loss_backward_log_beta_gpu_kernelIflEEvPT_PKS3_PKllPKT0_S8_lllllllS8_lll
; %bb.0:
	s_clause 0x1
	s_load_u16 s2, s[0:1], 0x96
	s_load_b128 s[20:23], s[0:1], 0x70
	s_bfe_u32 s3, ttmp6, 0x40010
	s_bfe_u32 s4, ttmp6, 0x40004
	s_add_co_i32 s3, s3, 1
	v_bfe_u32 v1, v0, 10, 10
	s_mul_i32 s3, ttmp7, s3
	v_mov_b32_e32 v11, 0
	s_add_co_i32 s4, s4, s3
	s_getreg_b32 s3, hwreg(HW_REG_IB_STS2, 6, 4)
	s_delay_alu instid0(SALU_CYCLE_1) | instskip(SKIP_4) | instid1(VALU_DEP_1)
	s_cmp_eq_u32 s3, 0
	s_cselect_b32 s3, ttmp7, s4
	s_wait_kmcnt 0x0
	v_mad_u32 v10, s3, s2, v1
	s_mov_b32 s2, exec_lo
	v_cmpx_gt_i64_e64 s[22:23], v[10:11]
	s_cbranch_execz .LBB11_43
; %bb.1:
	s_load_b64 s[2:3], s[0:1], 0x10
	s_wait_kmcnt 0x0
	v_lshl_add_u64 v[2:3], v[10:11], 3, s[2:3]
	global_load_b64 v[2:3], v[2:3], off
	s_wait_loadcnt 0x0
	v_cmp_ne_u64_e32 vcc_lo, 0, v[2:3]
	s_and_b32 exec_lo, exec_lo, vcc_lo
	s_cbranch_execz .LBB11_43
; %bb.2:
	s_clause 0x1
	s_load_b64 s[2:3], s[0:1], 0x28
	s_load_b64 s[4:5], s[0:1], 0x68
	v_lshlrev_b64_e32 v[4:5], 3, v[10:11]
	s_mov_b32 s29, 0
	s_wait_kmcnt 0x0
	s_delay_alu instid0(VALU_DEP_1)
	v_add_nc_u64_e32 v[6:7], s[2:3], v[4:5]
	v_add_nc_u64_e32 v[4:5], s[4:5], v[4:5]
	s_load_b256 s[4:11], s[0:1], 0x30
	s_add_nc_u64 s[2:3], s[0:1], 0x88
	global_load_b64 v[16:17], v[6:7], off
	global_load_b64 v[12:13], v[4:5], off
	s_load_b32 s12, s[2:3], 0xc
	s_wait_kmcnt 0x0
	s_lshl_b64 s[22:23], s[4:5], 1
	s_delay_alu instid0(SALU_CYCLE_1)
	s_and_b64 s[2:3], s[22:23], 0xffffffff00000000
	s_and_b32 s28, s12, 0xffff
	s_cmp_lg_u64 s[2:3], 0
	s_cbranch_scc0 .LBB11_44
; %bb.3:
	s_add_nc_u64 s[2:3], s[28:29], 0
	s_mov_b32 s15, s29
	s_xor_b64 s[2:3], s[2:3], 0
	s_mov_b32 s19, s29
	s_cvt_f32_u32 s4, s2
	s_cvt_f32_u32 s5, s3
	s_sub_nc_u64 s[12:13], 0, s[2:3]
	s_delay_alu instid0(SALU_CYCLE_2) | instskip(NEXT) | instid1(SALU_CYCLE_3)
	s_fmamk_f32 s4, s5, 0x4f800000, s4
	v_s_rcp_f32 s4, s4
	s_delay_alu instid0(TRANS32_DEP_1) | instskip(NEXT) | instid1(SALU_CYCLE_3)
	s_mul_f32 s4, s4, 0x5f7ffffc
	s_mul_f32 s5, s4, 0x2f800000
	s_delay_alu instid0(SALU_CYCLE_3) | instskip(NEXT) | instid1(SALU_CYCLE_3)
	s_trunc_f32 s5, s5
	s_fmamk_f32 s4, s5, 0xcf800000, s4
	s_cvt_u32_f32 s5, s5
	s_delay_alu instid0(SALU_CYCLE_2) | instskip(NEXT) | instid1(SALU_CYCLE_3)
	s_cvt_u32_f32 s4, s4
	s_mul_u64 s[16:17], s[12:13], s[4:5]
	s_delay_alu instid0(SALU_CYCLE_1)
	s_mul_hi_u32 s25, s4, s17
	s_mul_i32 s24, s4, s17
	s_mul_hi_u32 s14, s4, s16
	s_mul_i32 s26, s5, s16
	s_add_nc_u64 s[14:15], s[14:15], s[24:25]
	s_mul_hi_u32 s18, s5, s16
	s_mul_hi_u32 s27, s5, s17
	s_add_co_u32 s14, s14, s26
	s_add_co_ci_u32 s18, s15, s18
	s_mul_i32 s16, s5, s17
	s_add_co_ci_u32 s17, s27, 0
	s_delay_alu instid0(SALU_CYCLE_1) | instskip(SKIP_3) | instid1(SALU_CYCLE_1)
	s_add_nc_u64 s[14:15], s[18:19], s[16:17]
	s_mov_b32 s17, s29
	s_add_co_u32 s4, s4, s14
	s_cselect_b32 s14, -1, 0
	s_cmp_lg_u32 s14, 0
	s_add_co_ci_u32 s5, s5, s15
	s_mov_b32 s15, s29
	s_mul_u64 s[12:13], s[12:13], s[4:5]
	s_delay_alu instid0(SALU_CYCLE_1)
	s_mul_hi_u32 s19, s4, s13
	s_mul_i32 s18, s4, s13
	s_mul_hi_u32 s14, s4, s12
	s_mul_i32 s24, s5, s12
	s_add_nc_u64 s[14:15], s[14:15], s[18:19]
	s_mul_hi_u32 s16, s5, s12
	s_mul_hi_u32 s25, s5, s13
	s_mul_i32 s12, s5, s13
	s_add_co_u32 s13, s14, s24
	s_add_co_ci_u32 s16, s15, s16
	s_add_co_ci_u32 s13, s25, 0
	s_mov_b32 s15, s29
	s_add_nc_u64 s[12:13], s[16:17], s[12:13]
	s_delay_alu instid0(SALU_CYCLE_1) | instskip(SKIP_1) | instid1(SALU_CYCLE_1)
	s_add_co_u32 s16, s4, s12
	s_cselect_b32 s4, -1, 0
	s_cmp_lg_u32 s4, 0
	s_add_co_ci_u32 s24, s5, s13
	s_ashr_i32 s4, s23, 31
	s_delay_alu instid0(SALU_CYCLE_1) | instskip(NEXT) | instid1(SALU_CYCLE_1)
	s_mov_b32 s5, s4
	s_add_nc_u64 s[12:13], s[22:23], s[4:5]
	s_delay_alu instid0(SALU_CYCLE_1) | instskip(NEXT) | instid1(SALU_CYCLE_1)
	s_xor_b64 s[12:13], s[12:13], s[4:5]
	s_mul_hi_u32 s19, s12, s24
	s_mul_i32 s18, s12, s24
	s_mul_hi_u32 s14, s12, s16
	s_mul_hi_u32 s26, s13, s16
	s_mul_i32 s16, s13, s16
	s_add_nc_u64 s[14:15], s[14:15], s[18:19]
	s_mul_hi_u32 s25, s13, s24
	s_add_co_u32 s14, s14, s16
	s_add_co_ci_u32 s16, s15, s26
	s_mul_i32 s18, s13, s24
	s_add_co_ci_u32 s19, s25, 0
	s_delay_alu instid0(SALU_CYCLE_1) | instskip(NEXT) | instid1(SALU_CYCLE_1)
	s_add_nc_u64 s[14:15], s[16:17], s[18:19]
	s_and_b64 s[16:17], s[14:15], 0xffffffff00000000
	s_delay_alu instid0(SALU_CYCLE_1) | instskip(NEXT) | instid1(SALU_CYCLE_1)
	s_or_b32 s16, s16, s14
	s_mul_u64 s[14:15], s[2:3], s[16:17]
	s_delay_alu instid0(SALU_CYCLE_1)
	s_sub_co_u32 s12, s12, s14
	s_cselect_b32 s14, -1, 0
	s_sub_co_i32 s16, s13, s15
	s_cmp_lg_u32 s14, 0
	s_sub_co_ci_u32 s16, s16, s3
	s_sub_co_u32 s17, s12, s2
	s_cselect_b32 s18, -1, 0
	s_delay_alu instid0(SALU_CYCLE_1) | instskip(SKIP_1) | instid1(SALU_CYCLE_1)
	s_cmp_lg_u32 s18, 0
	s_sub_co_ci_u32 s19, s16, 0
	s_cmp_ge_u32 s19, s3
	s_cselect_b32 s24, -1, 0
	s_cmp_ge_u32 s17, s2
	s_cselect_b32 s25, -1, 0
	s_cmp_eq_u32 s19, s3
	s_cselect_b32 s24, s25, s24
	s_cmp_lg_u32 s18, 0
	s_sub_co_ci_u32 s16, s16, s3
	s_sub_co_u32 s18, s17, s2
	s_cselect_b32 s25, -1, 0
	s_delay_alu instid0(SALU_CYCLE_1)
	s_cmp_lg_u32 s25, 0
	s_sub_co_ci_u32 s16, s16, 0
	s_cmp_lg_u32 s24, 0
	s_cselect_b32 s17, s18, s17
	s_cselect_b32 s16, s16, s19
	s_cmp_lg_u32 s14, 0
	s_sub_co_ci_u32 s13, s13, s15
	s_delay_alu instid0(SALU_CYCLE_1)
	s_cmp_ge_u32 s13, s3
	s_cselect_b32 s14, -1, 0
	s_cmp_ge_u32 s12, s2
	s_cselect_b32 s2, -1, 0
	s_cmp_eq_u32 s13, s3
	s_cselect_b32 s2, s2, s14
	s_delay_alu instid0(SALU_CYCLE_1) | instskip(SKIP_2) | instid1(SALU_CYCLE_1)
	s_cmp_lg_u32 s2, 0
	s_cselect_b32 s3, s16, s13
	s_cselect_b32 s2, s17, s12
	s_xor_b64 s[2:3], s[2:3], s[4:5]
	s_delay_alu instid0(SALU_CYCLE_1) | instskip(SKIP_1) | instid1(SALU_CYCLE_1)
	s_sub_nc_u64 s[2:3], s[2:3], s[4:5]
	s_mov_b32 s4, s29
	s_and_not1_b32 vcc_lo, exec_lo, s4
	s_cbranch_vccnz .LBB11_5
.LBB11_4:
	v_cvt_f32_u32_e32 v1, s28
	s_sub_co_i32 s3, 0, s28
	s_delay_alu instid0(VALU_DEP_1) | instskip(SKIP_1) | instid1(TRANS32_DEP_1)
	v_rcp_iflag_f32_e32 v1, v1
	v_nop
	v_mul_f32_e32 v1, 0x4f7ffffe, v1
	s_delay_alu instid0(VALU_DEP_1) | instskip(NEXT) | instid1(VALU_DEP_1)
	v_cvt_u32_f32_e32 v1, v1
	v_readfirstlane_b32 s2, v1
	s_mul_i32 s3, s3, s2
	s_delay_alu instid0(SALU_CYCLE_1) | instskip(NEXT) | instid1(SALU_CYCLE_1)
	s_mul_hi_u32 s3, s2, s3
	s_add_co_i32 s2, s2, s3
	s_delay_alu instid0(SALU_CYCLE_1) | instskip(NEXT) | instid1(SALU_CYCLE_1)
	s_mul_hi_u32 s2, s22, s2
	s_mul_i32 s2, s2, s28
	s_delay_alu instid0(SALU_CYCLE_1) | instskip(NEXT) | instid1(SALU_CYCLE_1)
	s_sub_co_i32 s2, s22, s2
	s_sub_co_i32 s3, s2, s28
	s_cmp_ge_u32 s2, s28
	s_cselect_b32 s2, s3, s2
	s_mov_b32 s3, 0
	s_sub_co_i32 s4, s2, s28
	s_cmp_ge_u32 s2, s28
	s_cselect_b32 s2, s4, s2
.LBB11_5:
	s_delay_alu instid0(SALU_CYCLE_1) | instskip(NEXT) | instid1(SALU_CYCLE_1)
	s_sub_nc_u64 s[30:31], s[22:23], s[2:3]
	v_cmp_lt_i64_e64 s4, s[30:31], 0
	s_and_b32 vcc_lo, exec_lo, s4
	s_cbranch_vccnz .LBB11_43
; %bb.6:
	s_load_b256 s[12:19], s[0:1], 0x50
	v_and_b32_e32 v0, 0x3ff, v0
	v_mov_b32_e32 v1, 0
	v_add_nc_u64_e32 v[6:7], -1, v[2:3]
	v_mul_u64_e32 v[22:23], s[8:9], v[10:11]
	s_load_b128 s[24:27], s[0:1], 0x0
	s_delay_alu instid0(VALU_DEP_3) | instskip(NEXT) | instid1(VALU_DEP_3)
	v_add_nc_u64_e32 v[4:5], s[22:23], v[0:1]
	v_mul_u64_e32 v[26:27], s[6:7], v[6:7]
	s_delay_alu instid0(VALU_DEP_2)
	v_sub_nc_u64_e64 v[14:15], v[4:5], s[2:3]
	s_wait_loadcnt 0x1
	v_lshlrev_b64_e32 v[4:5], 1, v[16:17]
	s_clause 0x1
	s_load_b64 s[2:3], s[0:1], 0x20
	s_load_b64 s[8:9], s[0:1], 0x80
	s_wait_kmcnt 0x0
	v_mul_u64_e32 v[20:21], s[12:13], v[10:11]
	v_mul_u64_e32 v[18:19], s[16:17], v[14:15]
	v_add_nc_u64_e32 v[8:9], -1, v[4:5]
	v_mul_u64_e32 v[24:25], s[14:15], v[6:7]
	s_mul_u64 s[4:5], s[16:17], s[28:29]
	s_delay_alu instid0(VALU_DEP_2) | instskip(SKIP_2) | instid1(VALU_DEP_2)
	v_lshrrev_b64 v[10:11], 1, v[8:9]
	s_wait_loadcnt 0x0
	v_lshl_add_u64 v[12:13], v[12:13], 3, s[2:3]
	v_mul_u64_e32 v[32:33], s[20:21], v[10:11]
	v_lshl_add_u64 v[28:29], v[22:23], 2, s[26:27]
	s_mul_u64 s[2:3], s[8:9], s[10:11]
	v_lshlrev_b64_e32 v[10:11], 2, v[20:21]
	v_lshlrev_b64_e32 v[18:19], 2, v[18:19]
	v_sub_nc_u64_e32 v[20:21], v[4:5], v[0:1]
	s_delay_alu instid0(VALU_DEP_2) | instskip(NEXT) | instid1(VALU_DEP_1)
	v_lshl_add_u64 v[24:25], v[24:25], 2, v[18:19]
	v_add_nc_u64_e32 v[30:31], v[24:25], v[10:11]
	v_lshl_add_u64 v[24:25], v[26:27], 2, v[28:29]
	v_lshl_add_u64 v[32:33], v[32:33], 3, v[12:13]
	s_delay_alu instid0(VALU_DEP_2) | instskip(NEXT) | instid1(VALU_DEP_4)
	v_lshl_add_u64 v[26:27], s[2:3], 2, v[24:25]
	v_add_nc_u64_e32 v[28:29], s[24:25], v[30:31]
	v_add_nc_u64_e32 v[30:31], -1, v[20:21]
	s_lshl_b64 s[2:3], s[4:5], 2
	s_delay_alu instid0(SALU_CYCLE_1)
	s_sub_nc_u64 s[12:13], 0, s[2:3]
	s_mov_b64 s[2:3], s[30:31]
	s_branch .LBB11_8
.LBB11_7:                               ;   in Loop: Header=BB11_8 Depth=1
	s_wait_xcnt 0x0
	s_or_b32 exec_lo, exec_lo, s4
	s_sub_nc_u64 s[2:3], s[2:3], s[28:29]
	v_add_nc_u64_e32 v[28:29], s[12:13], v[28:29]
	v_cmp_lt_i64_e64 s4, s[2:3], 0
	s_and_b32 vcc_lo, exec_lo, s4
	s_cbranch_vccnz .LBB11_16
.LBB11_8:                               ; =>This Inner Loop Header: Depth=1
	s_mov_b32 s4, exec_lo
                                        ; implicit-def: $vgpr34
	v_cmpx_ne_u64_e64 s[2:3], v[20:21]
	s_xor_b32 s4, exec_lo, s4
	s_cbranch_execz .LBB11_12
; %bb.9:                                ;   in Loop: Header=BB11_8 Depth=1
	s_wait_loadcnt 0x0
	v_mov_b32_e32 v34, 0xff800000
	s_mov_b32 s5, exec_lo
	v_cmpx_eq_u64_e64 s[2:3], v[30:31]
	s_cbranch_execz .LBB11_11
; %bb.10:                               ;   in Loop: Header=BB11_8 Depth=1
	global_load_b64 v[34:35], v[32:33], off
	s_wait_loadcnt 0x0
	v_mul_u64_e32 v[34:35], s[10:11], v[34:35]
	s_delay_alu instid0(VALU_DEP_1)
	v_lshl_add_u64 v[34:35], v[34:35], 2, v[24:25]
	global_load_b32 v34, v[34:35], off
.LBB11_11:                              ;   in Loop: Header=BB11_8 Depth=1
	s_wait_xcnt 0x0
	s_or_b32 exec_lo, exec_lo, s5
.LBB11_12:                              ;   in Loop: Header=BB11_8 Depth=1
	s_and_not1_saveexec_b32 s4, s4
	s_cbranch_execz .LBB11_14
; %bb.13:                               ;   in Loop: Header=BB11_8 Depth=1
	s_wait_loadcnt 0x0
	global_load_b32 v34, v[26:27], off
.LBB11_14:                              ;   in Loop: Header=BB11_8 Depth=1
	s_wait_xcnt 0x0
	s_or_b32 exec_lo, exec_lo, s4
	v_add_nc_u64_e32 v[36:37], s[2:3], v[0:1]
	s_mov_b32 s4, exec_lo
	s_delay_alu instid0(VALU_DEP_1)
	v_cmpx_ge_i64_e64 s[22:23], v[36:37]
	s_cbranch_execz .LBB11_7
; %bb.15:                               ;   in Loop: Header=BB11_8 Depth=1
	s_wait_loadcnt 0x0
	global_store_b32 v[28:29], v34, off
	s_branch .LBB11_7
.LBB11_16:
	s_load_b64 s[2:3], s[0:1], 0x18
	v_add_nc_u64_e32 v[20:21], 2, v[14:15]
	v_lshl_add_u64 v[24:25], v[14:15], 2, 4
	s_delay_alu instid0(VALU_DEP_2)
	v_mul_u64_e32 v[20:21], s[16:17], v[20:21]
	s_wait_kmcnt 0x0
	s_add_nc_u64 s[0:1], s[2:3], -1
	s_add_nc_u64 s[18:19], s[2:3], -2
	s_mul_u64 s[0:1], s[14:15], s[0:1]
	s_mul_u64 s[34:35], s[14:15], s[18:19]
	s_lshl_b64 s[0:1], s[0:1], 2
	s_lshl_b64 s[34:35], s[34:35], 2
	s_add_nc_u64 s[4:5], s[24:25], s[0:1]
	s_add_nc_u64 s[24:25], s[24:25], s[34:35]
	v_mad_nc_u64_u32 v[14:15], s16, v24, s[4:5]
	s_mul_u64 s[34:35], s[6:7], s[18:19]
	v_cmp_lt_i64_e64 s0, 0, v[16:17]
	v_cmp_ne_u64_e64 s1, 0, v[16:17]
	v_add_nc_u64_e32 v[16:17], s[24:25], v[18:19]
	v_add_nc_u64_e32 v[18:19], s[4:5], v[18:19]
	s_lshl_b64 s[14:15], s[14:15], 2
	s_delay_alu instid0(SALU_CYCLE_1)
	s_sub_nc_u64 s[14:15], 0, s[14:15]
	v_mad_u32 v15, s17, v24, v15
	v_lshl_add_u64 v[20:21], v[20:21], 2, s[4:5]
	v_cmp_gt_i64_e64 s5, s[2:3], 1
	s_lshl_b64 s[2:3], s[6:7], 2
	s_lshl_b64 s[6:7], s[10:11], 2
	s_sub_nc_u64 s[10:11], 0, s[2:3]
	v_mad_u32 v15, s16, v25, v15
	s_lshl_b64 s[16:17], s[34:35], 2
	s_delay_alu instid0(SALU_CYCLE_1) | instskip(NEXT) | instid1(SALU_CYCLE_1)
	s_add_nc_u64 s[16:17], s[26:27], s[16:17]
	v_lshl_add_u64 v[22:23], v[22:23], 2, s[16:17]
	s_branch .LBB11_18
.LBB11_17:                              ;   in Loop: Header=BB11_18 Depth=1
	s_sub_nc_u64 s[30:31], s[30:31], s[28:29]
	v_add_nc_u64_e32 v[16:17], s[12:13], v[16:17]
	v_cmp_lt_i64_e64 s2, s[30:31], 0
	v_add_nc_u64_e32 v[14:15], s[12:13], v[14:15]
	v_add_nc_u64_e32 v[18:19], s[12:13], v[18:19]
	;; [unrolled: 1-line block ×3, first 2 shown]
	s_and_b32 vcc_lo, exec_lo, s2
	s_cbranch_vccnz .LBB11_43
.LBB11_18:                              ; =>This Loop Header: Depth=1
                                        ;     Child Loop BB11_29 Depth 2
	v_add_nc_u64_e32 v[26:27], s[30:31], v[0:1]
	s_wait_loadcnt 0x0
	v_mov_b64_e32 v[28:29], s[8:9]
	s_mov_b32 s24, 0
	s_delay_alu instid0(VALU_DEP_2) | instskip(SKIP_1) | instid1(SALU_CYCLE_1)
	v_cmp_le_i64_e64 s3, v[26:27], v[4:5]
	s_and_b32 s2, s0, s3
	s_and_saveexec_b32 s4, s2
	s_cbranch_execz .LBB11_26
; %bb.19:                               ;   in Loop: Header=BB11_18 Depth=1
	v_and_b32_e32 v24, 1, v26
	v_mov_b64_e32 v[28:29], s[8:9]
	s_delay_alu instid0(VALU_DEP_2)
	v_cmp_eq_u32_e32 vcc_lo, 1, v24
	s_and_saveexec_b32 s2, vcc_lo
	s_cbranch_execz .LBB11_21
; %bb.20:                               ;   in Loop: Header=BB11_18 Depth=1
	v_lshrrev_b64 v[24:25], 1, v[26:27]
	s_delay_alu instid0(VALU_DEP_1) | instskip(NEXT) | instid1(VALU_DEP_1)
	v_mul_u64_e32 v[24:25], s[20:21], v[24:25]
	v_lshl_add_u64 v[24:25], v[24:25], 3, v[12:13]
	global_load_b64 v[28:29], v[24:25], off
.LBB11_21:                              ;   in Loop: Header=BB11_18 Depth=1
	s_wait_xcnt 0x0
	s_or_b32 exec_lo, exec_lo, s2
	s_mov_b32 s17, 0
	s_mov_b32 s16, exec_lo
	v_cmpx_lt_i64_e64 v[26:27], v[8:9]
	s_cbranch_execz .LBB11_25
; %bb.22:                               ;   in Loop: Header=BB11_18 Depth=1
	v_mov_b64_e32 v[24:25], s[8:9]
	s_and_saveexec_b32 s2, vcc_lo
	s_cbranch_execz .LBB11_24
; %bb.23:                               ;   in Loop: Header=BB11_18 Depth=1
	v_add_nc_u64_e32 v[24:25], 2, v[26:27]
	s_delay_alu instid0(VALU_DEP_1) | instskip(NEXT) | instid1(VALU_DEP_1)
	v_lshrrev_b64 v[24:25], 1, v[24:25]
	v_mul_u64_e32 v[24:25], s[20:21], v[24:25]
	s_delay_alu instid0(VALU_DEP_1)
	v_lshl_add_u64 v[24:25], v[24:25], 3, v[12:13]
	global_load_b64 v[24:25], v[24:25], off
.LBB11_24:                              ;   in Loop: Header=BB11_18 Depth=1
	s_wait_xcnt 0x0
	s_or_b32 exec_lo, exec_lo, s2
	s_wait_loadcnt 0x0
	s_delay_alu instid0(VALU_DEP_1)
	v_cmp_ne_u64_e32 vcc_lo, v[24:25], v[28:29]
	s_and_b32 s17, vcc_lo, exec_lo
.LBB11_25:                              ;   in Loop: Header=BB11_18 Depth=1
	s_or_b32 exec_lo, exec_lo, s16
	s_delay_alu instid0(SALU_CYCLE_1)
	s_and_b32 s24, s17, exec_lo
.LBB11_26:                              ;   in Loop: Header=BB11_18 Depth=1
	s_or_b32 exec_lo, exec_lo, s4
	s_delay_alu instid0(SALU_CYCLE_1)
	s_and_not1_b32 vcc_lo, exec_lo, s5
	s_cbranch_vccnz .LBB11_17
; %bb.27:                               ;   in Loop: Header=BB11_18 Depth=1
	s_wait_loadcnt 0x0
	v_mad_nc_u64_u32 v[24:25], s6, v28, v[22:23]
	v_cmp_gt_i64_e64 s2, 1, v[26:27]
	v_cmp_lt_i64_e32 vcc_lo, s[22:23], v[26:27]
	v_mov_b64_e32 v[30:31], v[14:15]
	v_mov_b64_e32 v[32:33], v[16:17]
	s_xor_b32 s26, s3, -1
	s_mov_b64 s[16:17], s[18:19]
	s_or_b32 s4, s1, s2
	v_cmp_lt_i64_e64 s2, v[26:27], v[4:5]
	v_mov_b64_e32 v[26:27], v[20:21]
	v_mad_u32 v25, s7, v28, v25
	s_and_b32 s25, s4, s3
	s_delay_alu instid0(VALU_DEP_1)
	v_mad_u32 v25, s6, v29, v25
	v_mov_b64_e32 v[28:29], v[18:19]
	s_branch .LBB11_29
.LBB11_28:                              ;   in Loop: Header=BB11_29 Depth=2
	s_wait_xcnt 0x0
	s_or_b32 exec_lo, exec_lo, s3
	v_add_nc_u64_e32 v[32:33], s[14:15], v[32:33]
	v_add_nc_u64_e32 v[30:31], s[14:15], v[30:31]
	;; [unrolled: 1-line block ×5, first 2 shown]
	s_add_nc_u64 s[16:17], s[16:17], -1
	s_delay_alu instid0(SALU_CYCLE_1)
	s_cmp_eq_u64 s[16:17], -1
	s_cbranch_scc1 .LBB11_17
.LBB11_29:                              ;   Parent Loop BB11_18 Depth=1
                                        ; =>  This Inner Loop Header: Depth=2
	v_cmp_ge_i64_e64 s3, s[16:17], v[6:7]
	s_mov_b32 s27, 0
	s_wait_storecnt 0x0
	s_barrier_signal -1
	s_barrier_wait -1
	s_or_b32 s3, s26, s3
	s_delay_alu instid0(SALU_CYCLE_1) | instskip(NEXT) | instid1(SALU_CYCLE_1)
	s_and_saveexec_b32 s4, s3
	s_xor_b32 s4, exec_lo, s4
	s_cbranch_execnz .LBB11_32
; %bb.30:                               ;   in Loop: Header=BB11_29 Depth=2
	s_or_saveexec_b32 s33, s4
	v_mov_b32_e32 v34, 0xff800000
	s_xor_b32 exec_lo, exec_lo, s33
	s_cbranch_execnz .LBB11_33
.LBB11_31:                              ;   in Loop: Header=BB11_29 Depth=2
	s_or_b32 exec_lo, exec_lo, s33
	s_and_saveexec_b32 s3, s27
	s_cbranch_execz .LBB11_28
	s_branch .LBB11_42
.LBB11_32:                              ;   in Loop: Header=BB11_29 Depth=2
	v_cmp_lt_i64_e64 s3, s[16:17], v[2:3]
	s_and_b32 s3, s3, s25
	s_delay_alu instid0(SALU_CYCLE_1) | instskip(NEXT) | instid1(SALU_CYCLE_1)
	s_nor_b32 s3, vcc_lo, s3
	s_and_b32 s27, s3, exec_lo
	s_or_saveexec_b32 s33, s4
	v_mov_b32_e32 v34, 0xff800000
	s_xor_b32 exec_lo, exec_lo, s33
	s_cbranch_execz .LBB11_31
.LBB11_33:                              ;   in Loop: Header=BB11_29 Depth=2
	v_add_nc_u64_e32 v[34:35], v[28:29], v[10:11]
	v_mov_b32_e32 v36, 0xff800000
	global_load_b32 v35, v[34:35], off
	s_wait_loadcnt 0x0
	v_dual_mov_b32 v34, 0xff800000 :: v_dual_mov_b32 v37, v35
	s_and_saveexec_b32 s4, s2
	s_cbranch_execz .LBB11_37
; %bb.34:                               ;   in Loop: Header=BB11_29 Depth=2
	v_add_nc_u64_e32 v[36:37], v[30:31], v[10:11]
	s_mov_b32 s34, exec_lo
	global_load_b32 v36, v[36:37], off
	s_wait_xcnt 0x0
	v_mov_b32_e32 v37, v35
	s_wait_loadcnt 0x0
	v_cmpx_gt_f32_e32 v36, v35
; %bb.35:                               ;   in Loop: Header=BB11_29 Depth=2
	v_mov_b32_e32 v37, v36
; %bb.36:                               ;   in Loop: Header=BB11_29 Depth=2
	s_or_b32 exec_lo, exec_lo, s34
.LBB11_37:                              ;   in Loop: Header=BB11_29 Depth=2
	s_delay_alu instid0(SALU_CYCLE_1)
	s_or_b32 exec_lo, exec_lo, s4
	s_and_saveexec_b32 s4, s24
	s_cbranch_execz .LBB11_41
; %bb.38:                               ;   in Loop: Header=BB11_29 Depth=2
	v_add_nc_u64_e32 v[38:39], v[26:27], v[10:11]
	s_mov_b32 s34, exec_lo
	global_load_b32 v34, v[38:39], off
	s_wait_loadcnt 0x0
	v_cmpx_gt_f32_e32 v34, v37
; %bb.39:                               ;   in Loop: Header=BB11_29 Depth=2
	v_mov_b32_e32 v37, v34
; %bb.40:                               ;   in Loop: Header=BB11_29 Depth=2
	s_or_b32 exec_lo, exec_lo, s34
.LBB11_41:                              ;   in Loop: Header=BB11_29 Depth=2
	s_delay_alu instid0(SALU_CYCLE_1) | instskip(SKIP_4) | instid1(VALU_DEP_1)
	s_or_b32 exec_lo, exec_lo, s4
	global_load_b32 v38, v[24:25], off
	v_cmp_neq_f32_e64 s3, 0xff800000, v37
	s_or_b32 s27, s27, exec_lo
	v_cndmask_b32_e64 v37, 0, v37, s3
	v_sub_f32_e32 v35, v35, v37
	s_delay_alu instid0(VALU_DEP_1) | instskip(NEXT) | instid1(VALU_DEP_1)
	v_mul_f32_e32 v39, 0x3fb8aa3b, v35
	v_rndne_f32_e32 v42, v39
	v_fma_f32 v41, 0x3fb8aa3b, v35, -v39
	s_delay_alu instid0(VALU_DEP_2) | instskip(NEXT) | instid1(VALU_DEP_2)
	v_dual_sub_f32 v39, v39, v42 :: v_dual_sub_f32 v36, v36, v37
	v_dual_sub_f32 v34, v34, v37 :: v_dual_fmac_f32 v41, 0x32a5705f, v35
	v_cvt_i32_f32_e32 v42, v42
	v_cmp_ngt_f32_e64 s3, 0xc2ce8ed0, v35
	s_delay_alu instid0(VALU_DEP_4) | instskip(NEXT) | instid1(VALU_DEP_1)
	v_mul_f32_e32 v40, 0x3fb8aa3b, v36
	v_rndne_f32_e32 v44, v40
	v_mul_f32_e32 v45, 0x3fb8aa3b, v34
	v_fma_f32 v43, 0x3fb8aa3b, v36, -v40
	s_delay_alu instid0(VALU_DEP_3) | instskip(NEXT) | instid1(VALU_DEP_3)
	v_sub_f32_e32 v40, v40, v44
	v_fma_f32 v46, 0x3fb8aa3b, v34, -v45
	s_delay_alu instid0(VALU_DEP_3) | instskip(SKIP_1) | instid1(VALU_DEP_3)
	v_fmac_f32_e32 v43, 0x32a5705f, v36
	v_rndne_f32_e32 v47, v45
	v_dual_fmac_f32 v46, 0x32a5705f, v34 :: v_dual_add_f32 v39, v39, v41
	s_delay_alu instid0(VALU_DEP_3) | instskip(SKIP_1) | instid1(VALU_DEP_3)
	v_add_f32_e32 v40, v40, v43
	v_cvt_i32_f32_e32 v43, v44
	v_exp_f32_e32 v39, v39
	s_delay_alu instid0(VALU_DEP_2) | instskip(NEXT) | instid1(TRANS32_DEP_2)
	v_exp_f32_e32 v40, v40
	v_ldexp_f32 v39, v39, v42
	s_delay_alu instid0(TRANS32_DEP_1) | instskip(SKIP_1) | instid1(VALU_DEP_3)
	v_ldexp_f32 v40, v40, v43
	v_cvt_i32_f32_e32 v42, v47
	v_cndmask_b32_e64 v39, 0, v39, s3
	v_cmp_ngt_f32_e64 s3, 0xc2ce8ed0, v36
	s_delay_alu instid0(VALU_DEP_1) | instskip(SKIP_1) | instid1(VALU_DEP_1)
	v_dual_sub_f32 v41, v45, v47 :: v_dual_cndmask_b32 v40, 0, v40, s3
	v_cmp_nlt_f32_e64 s3, 0x42b17218, v35
	v_cndmask_b32_e64 v35, 0x7f800000, v39, s3
	v_cmp_nlt_f32_e64 s3, 0x42b17218, v36
	s_delay_alu instid0(VALU_DEP_1) | instskip(SKIP_2) | instid1(VALU_DEP_3)
	v_cndmask_b32_e64 v36, 0x7f800000, v40, s3
	v_add_f32_e32 v41, v41, v46
	v_cmp_ngt_f32_e64 s3, 0xc2ce8ed0, v34
	v_add_f32_e32 v35, v35, v36
	s_delay_alu instid0(VALU_DEP_3) | instskip(SKIP_1) | instid1(TRANS32_DEP_1)
	v_exp_f32_e32 v41, v41
	v_nop
	v_ldexp_f32 v41, v41, v42
	s_delay_alu instid0(VALU_DEP_1) | instskip(SKIP_1) | instid1(VALU_DEP_1)
	v_cndmask_b32_e64 v39, 0, v41, s3
	v_cmp_nlt_f32_e64 s3, 0x42b17218, v34
	v_cndmask_b32_e64 v34, 0x7f800000, v39, s3
	s_delay_alu instid0(VALU_DEP_1) | instskip(NEXT) | instid1(VALU_DEP_1)
	v_add_f32_e32 v34, v34, v35
	v_cmp_gt_f32_e64 s3, 0x800000, v34
	s_delay_alu instid0(VALU_DEP_1) | instskip(NEXT) | instid1(VALU_DEP_1)
	v_cndmask_b32_e64 v35, 0, 32, s3
	v_ldexp_f32 v34, v34, v35
	s_delay_alu instid0(VALU_DEP_1) | instskip(SKIP_1) | instid1(TRANS32_DEP_1)
	v_log_f32_e32 v34, v34
	v_nop
	v_mul_f32_e32 v35, 0x3f317217, v34
	v_cmp_gt_f32_e64 s4, 0x7f800000, |v34|
	s_delay_alu instid0(VALU_DEP_2) | instskip(NEXT) | instid1(VALU_DEP_1)
	v_fma_f32 v35, 0x3f317217, v34, -v35
	v_fmac_f32_e32 v35, 0x3377d1cf, v34
	s_delay_alu instid0(VALU_DEP_1) | instskip(NEXT) | instid1(VALU_DEP_1)
	v_fmac_f32_e32 v35, 0x3f317217, v34
	v_cndmask_b32_e64 v34, v34, v35, s4
	v_cndmask_b32_e64 v35, 0, 0x41b17218, s3
	s_delay_alu instid0(VALU_DEP_1) | instskip(NEXT) | instid1(VALU_DEP_1)
	v_sub_f32_e32 v34, v34, v35
	v_add_f32_e32 v34, v37, v34
	s_wait_loadcnt 0x0
	s_delay_alu instid0(VALU_DEP_1)
	v_add_f32_e32 v34, v38, v34
	s_or_b32 exec_lo, exec_lo, s33
	s_and_saveexec_b32 s3, s27
	s_cbranch_execz .LBB11_28
.LBB11_42:                              ;   in Loop: Header=BB11_29 Depth=2
	v_add_nc_u64_e32 v[36:37], v[32:33], v[10:11]
	global_store_b32 v[36:37], v34, off
	s_branch .LBB11_28
.LBB11_43:
	s_endpgm
.LBB11_44:
                                        ; implicit-def: $sgpr2_sgpr3
	s_branch .LBB11_4
	.section	.rodata,"a",@progbits
	.p2align	6, 0x0
	.amdhsa_kernel _ZN2at6native12_GLOBAL__N_137ctc_loss_backward_log_beta_gpu_kernelIflEEvPT_PKS3_PKllPKT0_S8_lllllllS8_lll
		.amdhsa_group_segment_fixed_size 0
		.amdhsa_private_segment_fixed_size 0
		.amdhsa_kernarg_size 392
		.amdhsa_user_sgpr_count 2
		.amdhsa_user_sgpr_dispatch_ptr 0
		.amdhsa_user_sgpr_queue_ptr 0
		.amdhsa_user_sgpr_kernarg_segment_ptr 1
		.amdhsa_user_sgpr_dispatch_id 0
		.amdhsa_user_sgpr_kernarg_preload_length 0
		.amdhsa_user_sgpr_kernarg_preload_offset 0
		.amdhsa_user_sgpr_private_segment_size 0
		.amdhsa_wavefront_size32 1
		.amdhsa_uses_dynamic_stack 0
		.amdhsa_enable_private_segment 0
		.amdhsa_system_sgpr_workgroup_id_x 1
		.amdhsa_system_sgpr_workgroup_id_y 1
		.amdhsa_system_sgpr_workgroup_id_z 0
		.amdhsa_system_sgpr_workgroup_info 0
		.amdhsa_system_vgpr_workitem_id 1
		.amdhsa_next_free_vgpr 48
		.amdhsa_next_free_sgpr 36
		.amdhsa_named_barrier_count 0
		.amdhsa_reserve_vcc 1
		.amdhsa_float_round_mode_32 0
		.amdhsa_float_round_mode_16_64 0
		.amdhsa_float_denorm_mode_32 3
		.amdhsa_float_denorm_mode_16_64 3
		.amdhsa_fp16_overflow 0
		.amdhsa_memory_ordered 1
		.amdhsa_forward_progress 1
		.amdhsa_inst_pref_size 23
		.amdhsa_round_robin_scheduling 0
		.amdhsa_exception_fp_ieee_invalid_op 0
		.amdhsa_exception_fp_denorm_src 0
		.amdhsa_exception_fp_ieee_div_zero 0
		.amdhsa_exception_fp_ieee_overflow 0
		.amdhsa_exception_fp_ieee_underflow 0
		.amdhsa_exception_fp_ieee_inexact 0
		.amdhsa_exception_int_div_zero 0
	.end_amdhsa_kernel
	.section	.text._ZN2at6native12_GLOBAL__N_137ctc_loss_backward_log_beta_gpu_kernelIflEEvPT_PKS3_PKllPKT0_S8_lllllllS8_lll,"axG",@progbits,_ZN2at6native12_GLOBAL__N_137ctc_loss_backward_log_beta_gpu_kernelIflEEvPT_PKS3_PKllPKT0_S8_lllllllS8_lll,comdat
.Lfunc_end11:
	.size	_ZN2at6native12_GLOBAL__N_137ctc_loss_backward_log_beta_gpu_kernelIflEEvPT_PKS3_PKllPKT0_S8_lllllllS8_lll, .Lfunc_end11-_ZN2at6native12_GLOBAL__N_137ctc_loss_backward_log_beta_gpu_kernelIflEEvPT_PKS3_PKllPKT0_S8_lllllllS8_lll
                                        ; -- End function
	.set _ZN2at6native12_GLOBAL__N_137ctc_loss_backward_log_beta_gpu_kernelIflEEvPT_PKS3_PKllPKT0_S8_lllllllS8_lll.num_vgpr, 48
	.set _ZN2at6native12_GLOBAL__N_137ctc_loss_backward_log_beta_gpu_kernelIflEEvPT_PKS3_PKllPKT0_S8_lllllllS8_lll.num_agpr, 0
	.set _ZN2at6native12_GLOBAL__N_137ctc_loss_backward_log_beta_gpu_kernelIflEEvPT_PKS3_PKllPKT0_S8_lllllllS8_lll.numbered_sgpr, 36
	.set _ZN2at6native12_GLOBAL__N_137ctc_loss_backward_log_beta_gpu_kernelIflEEvPT_PKS3_PKllPKT0_S8_lllllllS8_lll.num_named_barrier, 0
	.set _ZN2at6native12_GLOBAL__N_137ctc_loss_backward_log_beta_gpu_kernelIflEEvPT_PKS3_PKllPKT0_S8_lllllllS8_lll.private_seg_size, 0
	.set _ZN2at6native12_GLOBAL__N_137ctc_loss_backward_log_beta_gpu_kernelIflEEvPT_PKS3_PKllPKT0_S8_lllllllS8_lll.uses_vcc, 1
	.set _ZN2at6native12_GLOBAL__N_137ctc_loss_backward_log_beta_gpu_kernelIflEEvPT_PKS3_PKllPKT0_S8_lllllllS8_lll.uses_flat_scratch, 0
	.set _ZN2at6native12_GLOBAL__N_137ctc_loss_backward_log_beta_gpu_kernelIflEEvPT_PKS3_PKllPKT0_S8_lllllllS8_lll.has_dyn_sized_stack, 0
	.set _ZN2at6native12_GLOBAL__N_137ctc_loss_backward_log_beta_gpu_kernelIflEEvPT_PKS3_PKllPKT0_S8_lllllllS8_lll.has_recursion, 0
	.set _ZN2at6native12_GLOBAL__N_137ctc_loss_backward_log_beta_gpu_kernelIflEEvPT_PKS3_PKllPKT0_S8_lllllllS8_lll.has_indirect_call, 0
	.section	.AMDGPU.csdata,"",@progbits
; Kernel info:
; codeLenInByte = 2856
; TotalNumSgprs: 38
; NumVgprs: 48
; ScratchSize: 0
; MemoryBound: 0
; FloatMode: 240
; IeeeMode: 1
; LDSByteSize: 0 bytes/workgroup (compile time only)
; SGPRBlocks: 0
; VGPRBlocks: 2
; NumSGPRsForWavesPerEU: 38
; NumVGPRsForWavesPerEU: 48
; NamedBarCnt: 0
; Occupancy: 16
; WaveLimiterHint : 1
; COMPUTE_PGM_RSRC2:SCRATCH_EN: 0
; COMPUTE_PGM_RSRC2:USER_SGPR: 2
; COMPUTE_PGM_RSRC2:TRAP_HANDLER: 0
; COMPUTE_PGM_RSRC2:TGID_X_EN: 1
; COMPUTE_PGM_RSRC2:TGID_Y_EN: 1
; COMPUTE_PGM_RSRC2:TGID_Z_EN: 0
; COMPUTE_PGM_RSRC2:TIDIG_COMP_CNT: 1
	.section	.text._ZN2at6native12_GLOBAL__N_145ctc_loss_backward_collect_nonblank_gpu_kernelIflEEvPT_PKS3_lS6_S6_S6_PKlPKT0_S8_S6_llllllllllllS8_llb,"axG",@progbits,_ZN2at6native12_GLOBAL__N_145ctc_loss_backward_collect_nonblank_gpu_kernelIflEEvPT_PKS3_lS6_S6_S6_PKlPKT0_S8_S6_llllllllllllS8_llb,comdat
	.globl	_ZN2at6native12_GLOBAL__N_145ctc_loss_backward_collect_nonblank_gpu_kernelIflEEvPT_PKS3_lS6_S6_S6_PKlPKT0_S8_S6_llllllllllllS8_llb ; -- Begin function _ZN2at6native12_GLOBAL__N_145ctc_loss_backward_collect_nonblank_gpu_kernelIflEEvPT_PKS3_lS6_S6_S6_PKlPKT0_S8_S6_llllllllllllS8_llb
	.p2align	8
	.type	_ZN2at6native12_GLOBAL__N_145ctc_loss_backward_collect_nonblank_gpu_kernelIflEEvPT_PKS3_lS6_S6_S6_PKlPKT0_S8_S6_llllllllllllS8_llb,@function
_ZN2at6native12_GLOBAL__N_145ctc_loss_backward_collect_nonblank_gpu_kernelIflEEvPT_PKS3_lS6_S6_S6_PKlPKT0_S8_S6_llllllllllllS8_llb: ; @_ZN2at6native12_GLOBAL__N_145ctc_loss_backward_collect_nonblank_gpu_kernelIflEEvPT_PKS3_lS6_S6_S6_PKlPKT0_S8_S6_llllllllllllS8_llb
; %bb.0:
	s_clause 0x1
	s_load_b32 s2, s[0:1], 0xdc
	s_load_b128 s[4:7], s[0:1], 0xb8
	s_bfe_u32 s3, ttmp6, 0x40010
	s_bfe_u32 s8, ttmp6, 0x40004
	s_add_co_i32 s3, s3, 1
	v_bfe_u32 v1, v0, 10, 10
	s_mul_i32 s9, ttmp7, s3
	s_getreg_b32 s3, hwreg(HW_REG_IB_STS2, 6, 4)
	s_add_co_i32 s8, s8, s9
	v_mov_b32_e32 v3, 0
	s_wait_kmcnt 0x0
	s_lshr_b32 s9, s2, 16
	s_cmp_eq_u32 s3, 0
	s_cselect_b32 s8, ttmp7, s8
	s_delay_alu instid0(SALU_CYCLE_1) | instskip(NEXT) | instid1(VALU_DEP_1)
	v_mad_u32 v2, s8, s9, v1
	v_cmp_gt_i64_e32 vcc_lo, s[6:7], v[2:3]
	s_and_saveexec_b32 s6, vcc_lo
	s_cbranch_execz .LBB12_5
; %bb.1:
	s_load_b64 s[6:7], s[0:1], 0x40
	v_and_b32_e32 v0, 0x3ff, v0
	v_mov_b32_e32 v1, v3
	s_and_b32 s2, s2, 0xffff
	s_wait_kmcnt 0x0
	v_lshl_add_u64 v[4:5], v[2:3], 3, s[6:7]
	s_bfe_u32 s6, ttmp6, 0x4000c
	s_and_b32 s7, ttmp6, 15
	s_add_co_i32 s6, s6, 1
	s_delay_alu instid0(SALU_CYCLE_1)
	s_mul_i32 s6, ttmp9, s6
	global_load_b64 v[6:7], v[4:5], off
	s_add_co_i32 s7, s7, s6
	s_cmp_eq_u32 s3, 0
	s_cselect_b32 s3, ttmp9, s7
	s_wait_xcnt 0x0
	v_mad_nc_u64_u32 v[4:5], s2, s3, v[0:1]
	s_wait_loadcnt 0x0
	s_delay_alu instid0(VALU_DEP_1)
	v_cmp_lt_i64_e32 vcc_lo, v[4:5], v[6:7]
	s_and_b32 exec_lo, exec_lo, vcc_lo
	s_cbranch_execz .LBB12_5
; %bb.2:
	s_clause 0x2
	s_load_b64 s[2:3], s[0:1], 0x48
	s_load_b32 s8, s[0:1], 0xc8
	s_load_b64 s[6:7], s[0:1], 0x30
	s_wait_kmcnt 0x0
	v_lshl_add_u64 v[6:7], v[2:3], 2, s[2:3]
	s_bitcmp1_b32 s8, 0
	v_lshl_add_u64 v[8:9], v[2:3], 3, s[6:7]
	s_cselect_b32 s3, -1, 0
	global_load_b32 v10, v[6:7], off
	global_load_b64 v[0:1], v[8:9], off
	s_xor_b32 s3, s3, -1
	s_wait_loadcnt 0x1
	v_cmp_neq_f32_e32 vcc_lo, 0x7f800000, v10
	s_wait_loadcnt 0x0
	v_cmp_lt_i64_e64 s2, 0, v[0:1]
	s_or_b32 s3, s3, vcc_lo
	s_delay_alu instid0(SALU_CYCLE_1) | instskip(NEXT) | instid1(SALU_CYCLE_1)
	s_and_b32 s2, s3, s2
	s_and_b32 exec_lo, exec_lo, s2
	s_cbranch_execz .LBB12_5
; %bb.3:
	s_load_b64 s[2:3], s[0:1], 0xb0
	v_mul_u64_e32 v[8:9], s[4:5], v[4:5]
	v_lshlrev_b64_e32 v[4:5], 1, v[4:5]
	s_delay_alu instid0(VALU_DEP_1)
	v_or_b32_e32 v4, 1, v4
	s_wait_kmcnt 0x0
	v_lshl_add_u64 v[6:7], v[2:3], 3, s[2:3]
	global_load_b64 v[6:7], v[6:7], off
	s_clause 0x1
	s_load_b64 s[2:3], s[0:1], 0x38
	s_load_b256 s[20:27], s[0:1], 0x0
	s_wait_loadcnt 0x0
	s_wait_kmcnt 0x0
	v_lshl_add_u64 v[6:7], v[6:7], 3, s[2:3]
	s_delay_alu instid0(VALU_DEP_1)
	v_lshl_add_u64 v[6:7], v[8:9], 3, v[6:7]
	v_mul_u64_e32 v[8:9], s[24:25], v[2:3]
	global_load_b64 v[6:7], v[6:7], off
	v_lshl_add_u64 v[8:9], v[8:9], 2, s[22:23]
	global_load_b32 v11, v[8:9], off
	s_clause 0x1
	s_load_b512 s[4:19], s[0:1], 0x50
	s_load_b256 s[36:43], s[0:1], 0x90
	s_wait_kmcnt 0x0
	v_mul_u64_e32 v[8:9], s[16:17], v[2:3]
	v_mul_u64_e32 v[12:13], s[38:39], v[2:3]
	;; [unrolled: 1-line block ×6, first 2 shown]
	s_load_b128 s[0:3], s[0:1], 0x20
	s_lshl_b64 s[4:5], s[4:5], 2
	s_lshl_b64 s[6:7], s[10:11], 2
	s_wait_loadcnt 0x1
	v_mul_u64_e32 v[18:19], s[14:15], v[6:7]
	v_mul_u64_e32 v[20:21], s[8:9], v[6:7]
	v_lshl_add_u64 v[6:7], v[8:9], 2, s[26:27]
	s_wait_kmcnt 0x0
	v_lshl_add_u64 v[8:9], v[12:13], 2, s[0:1]
	v_lshl_add_u64 v[12:13], v[14:15], 2, s[2:3]
	;; [unrolled: 1-line block ×3, first 2 shown]
	s_lshl_b64 s[0:1], s[40:41], 2
	v_lshl_add_u64 v[2:3], v[16:17], 2, v[6:7]
	v_lshl_add_u64 v[4:5], v[4:5], 2, v[8:9]
	s_lshl_b64 s[2:3], s[18:19], 2
	s_mov_b32 s8, 0
	v_lshl_add_u64 v[6:7], v[18:19], 2, v[12:13]
	v_lshl_add_u64 v[8:9], v[20:21], 2, v[14:15]
.LBB12_4:                               ; =>This Inner Loop Header: Depth=1
	global_load_b32 v12, v[2:3], off
	global_load_b32 v13, v[4:5], off
	;; [unrolled: 1-line block ×3, first 2 shown]
	v_add_nc_u64_e32 v[0:1], -1, v[0:1]
	s_wait_xcnt 0x1
	v_add_nc_u64_e32 v[4:5], s[0:1], v[4:5]
	v_add_nc_u64_e32 v[2:3], s[2:3], v[2:3]
	s_wait_xcnt 0x0
	v_add_nc_u64_e32 v[6:7], s[6:7], v[6:7]
	s_wait_loadcnt 0x1
	v_add_f32_e32 v12, v12, v13
	s_delay_alu instid0(VALU_DEP_1) | instskip(SKIP_1) | instid1(VALU_DEP_1)
	v_add_f32_e32 v12, v10, v12
	s_wait_loadcnt 0x0
	v_sub_f32_e32 v12, v12, v14
	s_delay_alu instid0(VALU_DEP_1) | instskip(SKIP_1) | instid1(VALU_DEP_2)
	v_mul_f32_e32 v13, 0x3fb8aa3b, v12
	v_cmp_ngt_f32_e32 vcc_lo, 0xc2ce8ed0, v12
	v_fma_f32 v14, 0x3fb8aa3b, v12, -v13
	v_rndne_f32_e32 v15, v13
	s_delay_alu instid0(VALU_DEP_1) | instskip(NEXT) | instid1(VALU_DEP_1)
	v_dual_fmac_f32 v14, 0x32a5705f, v12 :: v_dual_sub_f32 v13, v13, v15
	v_add_f32_e32 v13, v13, v14
	v_cvt_i32_f32_e32 v14, v15
	s_delay_alu instid0(VALU_DEP_2) | instskip(SKIP_1) | instid1(TRANS32_DEP_1)
	v_exp_f32_e32 v13, v13
	v_nop
	v_ldexp_f32 v13, v13, v14
	s_delay_alu instid0(VALU_DEP_1) | instskip(SKIP_1) | instid1(VALU_DEP_2)
	v_cndmask_b32_e32 v13, 0, v13, vcc_lo
	v_cmp_nlt_f32_e32 vcc_lo, 0x42b17218, v12
	v_cndmask_b32_e32 v12, 0x7f800000, v13, vcc_lo
	v_cmp_eq_u64_e32 vcc_lo, 0, v[0:1]
	s_delay_alu instid0(VALU_DEP_2)
	v_mul_f32_e64 v12, v11, -v12
	s_or_b32 s8, vcc_lo, s8
	global_atomic_add_f32 v[8:9], v12, off scope:SCOPE_DEV
	s_wait_xcnt 0x0
	v_add_nc_u64_e32 v[8:9], s[4:5], v[8:9]
	s_and_not1_b32 exec_lo, exec_lo, s8
	s_cbranch_execnz .LBB12_4
.LBB12_5:
	s_endpgm
	.section	.rodata,"a",@progbits
	.p2align	6, 0x0
	.amdhsa_kernel _ZN2at6native12_GLOBAL__N_145ctc_loss_backward_collect_nonblank_gpu_kernelIflEEvPT_PKS3_lS6_S6_S6_PKlPKT0_S8_S6_llllllllllllS8_llb
		.amdhsa_group_segment_fixed_size 0
		.amdhsa_private_segment_fixed_size 0
		.amdhsa_kernarg_size 464
		.amdhsa_user_sgpr_count 2
		.amdhsa_user_sgpr_dispatch_ptr 0
		.amdhsa_user_sgpr_queue_ptr 0
		.amdhsa_user_sgpr_kernarg_segment_ptr 1
		.amdhsa_user_sgpr_dispatch_id 0
		.amdhsa_user_sgpr_kernarg_preload_length 0
		.amdhsa_user_sgpr_kernarg_preload_offset 0
		.amdhsa_user_sgpr_private_segment_size 0
		.amdhsa_wavefront_size32 1
		.amdhsa_uses_dynamic_stack 0
		.amdhsa_enable_private_segment 0
		.amdhsa_system_sgpr_workgroup_id_x 1
		.amdhsa_system_sgpr_workgroup_id_y 1
		.amdhsa_system_sgpr_workgroup_id_z 0
		.amdhsa_system_sgpr_workgroup_info 0
		.amdhsa_system_vgpr_workitem_id 1
		.amdhsa_next_free_vgpr 22
		.amdhsa_next_free_sgpr 44
		.amdhsa_named_barrier_count 0
		.amdhsa_reserve_vcc 1
		.amdhsa_float_round_mode_32 0
		.amdhsa_float_round_mode_16_64 0
		.amdhsa_float_denorm_mode_32 3
		.amdhsa_float_denorm_mode_16_64 3
		.amdhsa_fp16_overflow 0
		.amdhsa_memory_ordered 1
		.amdhsa_forward_progress 1
		.amdhsa_inst_pref_size 7
		.amdhsa_round_robin_scheduling 0
		.amdhsa_exception_fp_ieee_invalid_op 0
		.amdhsa_exception_fp_denorm_src 0
		.amdhsa_exception_fp_ieee_div_zero 0
		.amdhsa_exception_fp_ieee_overflow 0
		.amdhsa_exception_fp_ieee_underflow 0
		.amdhsa_exception_fp_ieee_inexact 0
		.amdhsa_exception_int_div_zero 0
	.end_amdhsa_kernel
	.section	.text._ZN2at6native12_GLOBAL__N_145ctc_loss_backward_collect_nonblank_gpu_kernelIflEEvPT_PKS3_lS6_S6_S6_PKlPKT0_S8_S6_llllllllllllS8_llb,"axG",@progbits,_ZN2at6native12_GLOBAL__N_145ctc_loss_backward_collect_nonblank_gpu_kernelIflEEvPT_PKS3_lS6_S6_S6_PKlPKT0_S8_S6_llllllllllllS8_llb,comdat
.Lfunc_end12:
	.size	_ZN2at6native12_GLOBAL__N_145ctc_loss_backward_collect_nonblank_gpu_kernelIflEEvPT_PKS3_lS6_S6_S6_PKlPKT0_S8_S6_llllllllllllS8_llb, .Lfunc_end12-_ZN2at6native12_GLOBAL__N_145ctc_loss_backward_collect_nonblank_gpu_kernelIflEEvPT_PKS3_lS6_S6_S6_PKlPKT0_S8_S6_llllllllllllS8_llb
                                        ; -- End function
	.set _ZN2at6native12_GLOBAL__N_145ctc_loss_backward_collect_nonblank_gpu_kernelIflEEvPT_PKS3_lS6_S6_S6_PKlPKT0_S8_S6_llllllllllllS8_llb.num_vgpr, 22
	.set _ZN2at6native12_GLOBAL__N_145ctc_loss_backward_collect_nonblank_gpu_kernelIflEEvPT_PKS3_lS6_S6_S6_PKlPKT0_S8_S6_llllllllllllS8_llb.num_agpr, 0
	.set _ZN2at6native12_GLOBAL__N_145ctc_loss_backward_collect_nonblank_gpu_kernelIflEEvPT_PKS3_lS6_S6_S6_PKlPKT0_S8_S6_llllllllllllS8_llb.numbered_sgpr, 44
	.set _ZN2at6native12_GLOBAL__N_145ctc_loss_backward_collect_nonblank_gpu_kernelIflEEvPT_PKS3_lS6_S6_S6_PKlPKT0_S8_S6_llllllllllllS8_llb.num_named_barrier, 0
	.set _ZN2at6native12_GLOBAL__N_145ctc_loss_backward_collect_nonblank_gpu_kernelIflEEvPT_PKS3_lS6_S6_S6_PKlPKT0_S8_S6_llllllllllllS8_llb.private_seg_size, 0
	.set _ZN2at6native12_GLOBAL__N_145ctc_loss_backward_collect_nonblank_gpu_kernelIflEEvPT_PKS3_lS6_S6_S6_PKlPKT0_S8_S6_llllllllllllS8_llb.uses_vcc, 1
	.set _ZN2at6native12_GLOBAL__N_145ctc_loss_backward_collect_nonblank_gpu_kernelIflEEvPT_PKS3_lS6_S6_S6_PKlPKT0_S8_S6_llllllllllllS8_llb.uses_flat_scratch, 0
	.set _ZN2at6native12_GLOBAL__N_145ctc_loss_backward_collect_nonblank_gpu_kernelIflEEvPT_PKS3_lS6_S6_S6_PKlPKT0_S8_S6_llllllllllllS8_llb.has_dyn_sized_stack, 0
	.set _ZN2at6native12_GLOBAL__N_145ctc_loss_backward_collect_nonblank_gpu_kernelIflEEvPT_PKS3_lS6_S6_S6_PKlPKT0_S8_S6_llllllllllllS8_llb.has_recursion, 0
	.set _ZN2at6native12_GLOBAL__N_145ctc_loss_backward_collect_nonblank_gpu_kernelIflEEvPT_PKS3_lS6_S6_S6_PKlPKT0_S8_S6_llllllllllllS8_llb.has_indirect_call, 0
	.section	.AMDGPU.csdata,"",@progbits
; Kernel info:
; codeLenInByte = 880
; TotalNumSgprs: 46
; NumVgprs: 22
; ScratchSize: 0
; MemoryBound: 0
; FloatMode: 240
; IeeeMode: 1
; LDSByteSize: 0 bytes/workgroup (compile time only)
; SGPRBlocks: 0
; VGPRBlocks: 1
; NumSGPRsForWavesPerEU: 46
; NumVGPRsForWavesPerEU: 22
; NamedBarCnt: 0
; Occupancy: 16
; WaveLimiterHint : 1
; COMPUTE_PGM_RSRC2:SCRATCH_EN: 0
; COMPUTE_PGM_RSRC2:USER_SGPR: 2
; COMPUTE_PGM_RSRC2:TRAP_HANDLER: 0
; COMPUTE_PGM_RSRC2:TGID_X_EN: 1
; COMPUTE_PGM_RSRC2:TGID_Y_EN: 1
; COMPUTE_PGM_RSRC2:TGID_Z_EN: 0
; COMPUTE_PGM_RSRC2:TIDIG_COMP_CNT: 1
	.section	.text._ZN2at6native12_GLOBAL__N_136ctc_loss_backward_collect_gpu_kernelIflEEvPT_PKS3_lS6_S6_S6_PKllPKT0_S8_lS6_llllllllllllS8_llllb,"axG",@progbits,_ZN2at6native12_GLOBAL__N_136ctc_loss_backward_collect_gpu_kernelIflEEvPT_PKS3_lS6_S6_S6_PKllPKT0_S8_lS6_llllllllllllS8_llllb,comdat
	.globl	_ZN2at6native12_GLOBAL__N_136ctc_loss_backward_collect_gpu_kernelIflEEvPT_PKS3_lS6_S6_S6_PKllPKT0_S8_lS6_llllllllllllS8_llllb ; -- Begin function _ZN2at6native12_GLOBAL__N_136ctc_loss_backward_collect_gpu_kernelIflEEvPT_PKS3_lS6_S6_S6_PKllPKT0_S8_lS6_llllllllllllS8_llllb
	.p2align	8
	.type	_ZN2at6native12_GLOBAL__N_136ctc_loss_backward_collect_gpu_kernelIflEEvPT_PKS3_lS6_S6_S6_PKllPKT0_S8_lS6_llllllllllllS8_llllb,@function
_ZN2at6native12_GLOBAL__N_136ctc_loss_backward_collect_gpu_kernelIflEEvPT_PKS3_lS6_S6_S6_PKllPKT0_S8_lS6_llllllllllllS8_llllb: ; @_ZN2at6native12_GLOBAL__N_136ctc_loss_backward_collect_gpu_kernelIflEEvPT_PKS3_lS6_S6_S6_PKllPKT0_S8_lS6_llllllllllllS8_llllb
; %bb.0:
	s_load_b32 s4, s[0:1], 0xfc
	s_bfe_u32 s6, ttmp6, 0x4000c
	s_bfe_u32 s7, ttmp6, 0x40010
	v_mov_b32_e32 v1, 0
	s_clause 0x1
	s_load_b64 s[2:3], s[0:1], 0x38
	s_load_b256 s[20:27], s[0:1], 0xc8
	s_add_co_i32 s6, s6, 1
	s_add_co_i32 s7, s7, 1
	s_and_b32 s5, ttmp6, 15
	s_bfe_u32 s8, ttmp6, 0x40004
	s_mul_i32 s6, ttmp9, s6
	s_mul_i32 s7, ttmp7, s7
	s_getreg_b32 s9, hwreg(HW_REG_IB_STS2, 6, 4)
	v_bfe_u32 v4, v0, 10, 10
	v_and_b32_e32 v2, 0x3ff, v0
	v_mov_b32_e32 v3, v1
	s_add_co_i32 s5, s5, s6
	s_add_co_i32 s8, s8, s7
	s_wait_kmcnt 0x0
	s_lshr_b32 s6, s4, 16
	s_and_b32 s4, s4, 0xffff
	s_cmp_eq_u32 s9, 0
	s_cselect_b32 s5, ttmp9, s5
	s_cselect_b32 s7, ttmp7, s8
	v_mad_nc_u64_u32 v[2:3], s4, s5, v[2:3]
	v_mad_u32 v0, s7, s6, v4
	s_delay_alu instid0(VALU_DEP_2) | instskip(NEXT) | instid1(VALU_DEP_2)
	v_cmp_gt_i64_e32 vcc_lo, s[2:3], v[2:3]
	v_cmp_gt_i64_e64 s2, s[22:23], v[0:1]
	s_and_b32 s2, vcc_lo, s2
	s_delay_alu instid0(SALU_CYCLE_1)
	s_and_saveexec_b32 s3, s2
	s_cbranch_execz .LBB13_15
; %bb.1:
	s_clause 0x1
	s_load_b64 s[4:5], s[0:1], 0x30
	s_load_b64 s[2:3], s[0:1], 0x50
	s_wait_kmcnt 0x0
	v_lshl_add_u64 v[4:5], v[0:1], 3, s[4:5]
	s_load_b512 s[4:19], s[0:1], 0x60
	global_load_b64 v[4:5], v[4:5], off
	s_wait_kmcnt 0x0
	v_mul_u64_e32 v[8:9], s[6:7], v[0:1]
	v_mul_u64_e32 v[6:7], s[4:5], v[2:3]
	s_load_b64 s[4:5], s[0:1], 0x0
	v_cmp_lt_i64_e64 s6, s[2:3], 0
	s_and_b32 vcc_lo, exec_lo, s6
	s_wait_kmcnt 0x0
	v_lshl_add_u64 v[8:9], v[8:9], 2, s[4:5]
	s_mov_b64 s[4:5], 0
	s_cbranch_vccnz .LBB13_10
; %bb.2:
	s_clause 0x1
	s_load_b128 s[28:31], s[0:1], 0x40
	s_load_b64 s[6:7], s[0:1], 0xc0
	v_lshlrev_b64_e32 v[10:11], 3, v[0:1]
	s_load_b256 s[36:43], s[0:1], 0xa0
	v_mul_u64_e32 v[18:19], s[18:19], v[2:3]
	s_load_b128 s[44:47], s[0:1], 0x18
	s_wait_kmcnt 0x0
	s_delay_alu instid0(VALU_DEP_2)
	v_add_nc_u64_e32 v[12:13], s[30:31], v[10:11]
	v_add_nc_u64_e32 v[10:11], s[6:7], v[10:11]
	s_lshl_b64 s[6:7], s[2:3], 1
	v_mul_u64_e32 v[20:21], s[40:41], v[2:3]
	s_lshl_b64 s[18:19], s[42:43], 2
	global_load_b64 v[14:15], v[12:13], off
	global_load_b64 v[16:17], v[10:11], off
	s_wait_xcnt 0x0
	v_mul_u64_e32 v[10:11], s[16:17], v[0:1]
	v_mul_u64_e32 v[12:13], s[38:39], v[0:1]
	s_lshl_b64 s[16:17], s[36:37], 2
	s_delay_alu instid0(VALU_DEP_2) | instskip(NEXT) | instid1(VALU_DEP_2)
	v_lshl_add_u64 v[22:23], v[10:11], 2, s[44:45]
	v_lshl_add_u64 v[24:25], v[12:13], 2, s[46:47]
	s_wait_loadcnt 0x1
	v_lshlrev_b64_e32 v[10:11], 1, v[14:15]
	s_wait_loadcnt 0x0
	v_lshl_add_u64 v[12:13], v[16:17], 3, s[28:29]
	v_lshl_add_u64 v[14:15], v[18:19], 2, v[22:23]
	;; [unrolled: 1-line block ×4, first 2 shown]
	s_branch .LBB13_5
.LBB13_3:                               ;   in Loop: Header=BB13_5 Depth=1
	s_or_b32 exec_lo, exec_lo, s22
	global_store_b32 v[20:21], v22, off
.LBB13_4:                               ;   in Loop: Header=BB13_5 Depth=1
	s_wait_xcnt 0x0
	s_or_b32 exec_lo, exec_lo, s3
	s_add_nc_u64 s[4:5], s[4:5], 1
	v_add_nc_u64_e32 v[14:15], s[16:17], v[14:15]
	v_cmp_lt_i64_e64 s2, s[6:7], s[4:5]
	v_add_nc_u64_e32 v[16:17], s[18:19], v[16:17]
	s_and_b32 vcc_lo, exec_lo, s2
	s_cbranch_vccnz .LBB13_10
.LBB13_5:                               ; =>This Inner Loop Header: Depth=1
	s_mov_b32 s3, exec_lo
	v_cmpx_le_i64_e64 s[4:5], v[10:11]
	s_cbranch_execz .LBB13_4
; %bb.6:                                ;   in Loop: Header=BB13_5 Depth=1
	v_mov_b64_e32 v[20:21], s[26:27]
	s_bitcmp0_b64 s[4:5], 0
	s_cbranch_scc1 .LBB13_8
; %bb.7:                                ;   in Loop: Header=BB13_5 Depth=1
	s_lshr_b64 s[22:23], s[4:5], 1
	s_delay_alu instid0(SALU_CYCLE_1) | instskip(NEXT) | instid1(SALU_CYCLE_1)
	s_mul_u64 s[22:23], s[20:21], s[22:23]
	v_lshl_add_u64 v[20:21], s[22:23], 3, v[12:13]
	global_load_b64 v[20:21], v[20:21], off
.LBB13_8:                               ;   in Loop: Header=BB13_5 Depth=1
	s_wait_loadcnt 0x0
	s_wait_xcnt 0x0
	s_delay_alu instid0(VALU_DEP_1) | instskip(SKIP_1) | instid1(VALU_DEP_1)
	v_mul_u64_e32 v[20:21], s[8:9], v[20:21]
	s_mov_b32 s22, exec_lo
	v_lshl_add_u64 v[20:21], v[20:21], 2, v[18:19]
	global_load_b32 v22, v[14:15], off
	global_load_b32 v24, v[16:17], off
	global_load_b32 v23, v[20:21], off
	s_wait_loadcnt 0x1
	v_add_f32_e32 v22, v22, v24
	s_wait_loadcnt 0x0
	s_wait_xcnt 0x0
	v_cmpx_neq_f32_e32 0xff800000, v23
	s_cbranch_execz .LBB13_3
; %bb.9:                                ;   in Loop: Header=BB13_5 Depth=1
	v_cmp_gt_f32_e32 vcc_lo, v23, v22
	v_cndmask_b32_e32 v24, v22, v23, vcc_lo
	s_delay_alu instid0(VALU_DEP_1) | instskip(NEXT) | instid1(VALU_DEP_1)
	v_sub_f32_e32 v23, v23, v24
	v_dual_mul_f32 v25, 0x3fb8aa3b, v23 :: v_dual_sub_f32 v22, v22, v24
	v_cmp_ngt_f32_e32 vcc_lo, 0xc2ce8ed0, v23
	s_delay_alu instid0(VALU_DEP_2) | instskip(SKIP_1) | instid1(VALU_DEP_1)
	v_fma_f32 v27, 0x3fb8aa3b, v23, -v25
	v_rndne_f32_e32 v28, v25
	v_dual_mul_f32 v26, 0x3fb8aa3b, v22 :: v_dual_sub_f32 v25, v25, v28
	s_delay_alu instid0(VALU_DEP_1) | instskip(SKIP_2) | instid1(VALU_DEP_3)
	v_fma_f32 v29, 0x3fb8aa3b, v22, -v26
	v_rndne_f32_e32 v30, v26
	v_fmac_f32_e32 v27, 0x32a5705f, v23
	v_fmac_f32_e32 v29, 0x32a5705f, v22
	s_delay_alu instid0(VALU_DEP_2) | instskip(SKIP_2) | instid1(VALU_DEP_3)
	v_dual_sub_f32 v26, v26, v30 :: v_dual_add_f32 v25, v25, v27
	v_cvt_i32_f32_e32 v27, v28
	v_cvt_i32_f32_e32 v28, v30
	v_add_f32_e32 v26, v26, v29
	s_delay_alu instid0(VALU_DEP_4) | instskip(NEXT) | instid1(VALU_DEP_1)
	v_exp_f32_e32 v25, v25
	v_exp_f32_e32 v26, v26
	s_delay_alu instid0(TRANS32_DEP_2) | instskip(NEXT) | instid1(TRANS32_DEP_1)
	v_ldexp_f32 v25, v25, v27
	v_ldexp_f32 v26, v26, v28
	s_delay_alu instid0(VALU_DEP_2) | instskip(SKIP_1) | instid1(VALU_DEP_3)
	v_cndmask_b32_e32 v25, 0, v25, vcc_lo
	v_cmp_ngt_f32_e32 vcc_lo, 0xc2ce8ed0, v22
	v_cndmask_b32_e32 v26, 0, v26, vcc_lo
	v_cmp_nlt_f32_e32 vcc_lo, 0x42b17218, v23
	s_delay_alu instid0(VALU_DEP_4) | instskip(SKIP_1) | instid1(VALU_DEP_4)
	v_cndmask_b32_e32 v23, 0x7f800000, v25, vcc_lo
	v_cmp_nlt_f32_e32 vcc_lo, 0x42b17218, v22
	v_cndmask_b32_e32 v22, 0x7f800000, v26, vcc_lo
	s_delay_alu instid0(VALU_DEP_1) | instskip(NEXT) | instid1(VALU_DEP_1)
	v_add_f32_e32 v22, v23, v22
	v_cmp_gt_f32_e32 vcc_lo, 0x800000, v22
	v_cndmask_b32_e64 v23, 0, 32, vcc_lo
	s_delay_alu instid0(VALU_DEP_1) | instskip(NEXT) | instid1(VALU_DEP_1)
	v_ldexp_f32 v22, v22, v23
	v_log_f32_e32 v22, v22
	v_nop
	s_delay_alu instid0(TRANS32_DEP_1) | instskip(SKIP_1) | instid1(VALU_DEP_2)
	v_mul_f32_e32 v23, 0x3f317217, v22
	v_cmp_gt_f32_e64 s2, 0x7f800000, |v22|
	v_fma_f32 v23, 0x3f317217, v22, -v23
	s_delay_alu instid0(VALU_DEP_1) | instskip(NEXT) | instid1(VALU_DEP_1)
	v_fmac_f32_e32 v23, 0x3377d1cf, v22
	v_fmac_f32_e32 v23, 0x3f317217, v22
	s_delay_alu instid0(VALU_DEP_1) | instskip(SKIP_1) | instid1(VALU_DEP_1)
	v_cndmask_b32_e64 v22, v22, v23, s2
	v_cndmask_b32_e64 v23, 0, 0x41b17218, vcc_lo
	v_sub_f32_e32 v22, v22, v23
	s_delay_alu instid0(VALU_DEP_1)
	v_add_f32_e32 v22, v24, v22
	s_branch .LBB13_3
.LBB13_10:
	v_cmp_lt_i64_e64 s2, s[24:25], 1
	s_and_b32 vcc_lo, exec_lo, s2
	s_cbranch_vccnz .LBB13_15
; %bb.11:
	s_clause 0x1
	s_load_b128 s[4:7], s[0:1], 0x8
	s_load_b64 s[2:3], s[0:1], 0x28
	s_wait_loadcnt 0x0
	v_cmp_lt_i64_e32 vcc_lo, v[2:3], v[4:5]
	s_wait_kmcnt 0x0
	v_mul_u64_e32 v[12:13], s[6:7], v[0:1]
	s_clause 0x1
	s_load_b64 s[6:7], s[0:1], 0x58
	s_load_b32 s16, s[0:1], 0xe8
	s_wait_kmcnt 0x0
	v_lshl_add_u64 v[10:11], v[0:1], 2, s[6:7]
	v_mul_u64_e32 v[0:1], s[12:13], v[0:1]
	s_bitcmp1_b32 s16, 0
	s_cselect_b32 s1, -1, 0
	global_load_b32 v10, v[10:11], off
	s_xor_b32 s1, s1, -1
	v_lshl_add_u64 v[12:13], v[12:13], 2, s[4:5]
	global_load_b32 v11, v[12:13], off
	s_wait_xcnt 0x0
	v_mul_u64_e32 v[12:13], s[10:11], v[2:3]
	v_lshl_add_u64 v[2:3], v[0:1], 2, s[2:3]
	v_lshl_add_u64 v[0:1], v[6:7], 2, v[8:9]
	s_lshl_b64 s[2:3], s[8:9], 2
	s_delay_alu instid0(VALU_DEP_2) | instskip(SKIP_3) | instid1(SALU_CYCLE_1)
	v_lshl_add_u64 v[2:3], v[12:13], 2, v[2:3]
	s_wait_loadcnt 0x1
	v_cmp_neq_f32_e64 s0, 0x7f800000, v10
	s_or_b32 s0, s1, s0
	s_and_b32 s4, vcc_lo, s0
	s_lshl_b64 s[0:1], s[14:15], 2
	s_branch .LBB13_13
.LBB13_12:                              ;   in Loop: Header=BB13_13 Depth=1
	s_wait_xcnt 0x0
	s_or_b32 exec_lo, exec_lo, s5
	global_store_b32 v[0:1], v4, off
	v_add_nc_u64_e32 v[2:3], s[0:1], v[2:3]
	s_wait_xcnt 0x0
	v_add_nc_u64_e32 v[0:1], s[2:3], v[0:1]
	s_add_nc_u64 s[24:25], s[24:25], -1
	s_delay_alu instid0(SALU_CYCLE_1)
	s_cmp_lg_u64 s[24:25], 0
	s_cbranch_scc0 .LBB13_15
.LBB13_13:                              ; =>This Inner Loop Header: Depth=1
	v_mov_b32_e32 v4, 0
	s_and_saveexec_b32 s5, s4
	s_cbranch_execz .LBB13_12
; %bb.14:                               ;   in Loop: Header=BB13_13 Depth=1
	global_load_b32 v4, v[0:1], off
	global_load_b32 v5, v[2:3], off
	s_wait_loadcnt 0x0
	v_mul_f32_e32 v6, 0x3fb8aa3b, v5
	v_cmp_ngt_f32_e32 vcc_lo, 0xc2ce8ed0, v5
	s_delay_alu instid0(VALU_DEP_2) | instskip(SKIP_2) | instid1(VALU_DEP_2)
	v_fma_f32 v9, 0x3fb8aa3b, v5, -v6
	v_add_f32_e32 v4, v10, v4
	v_rndne_f32_e32 v8, v6
	v_dual_fmac_f32 v9, 0x32a5705f, v5 :: v_dual_sub_f32 v4, v4, v5
	s_delay_alu instid0(VALU_DEP_2) | instskip(SKIP_1) | instid1(VALU_DEP_3)
	v_sub_f32_e32 v6, v6, v8
	v_cvt_i32_f32_e32 v8, v8
	v_mul_f32_e32 v7, 0x3fb8aa3b, v4
	s_delay_alu instid0(VALU_DEP_1) | instskip(SKIP_1) | instid1(VALU_DEP_1)
	v_fma_f32 v12, 0x3fb8aa3b, v4, -v7
	v_rndne_f32_e32 v13, v7
	v_dual_fmac_f32 v12, 0x32a5705f, v4 :: v_dual_sub_f32 v7, v7, v13
	v_add_f32_e32 v6, v6, v9
	v_cvt_i32_f32_e32 v9, v13
	s_delay_alu instid0(VALU_DEP_3) | instskip(NEXT) | instid1(VALU_DEP_3)
	v_add_f32_e32 v7, v7, v12
	v_exp_f32_e32 v6, v6
	s_delay_alu instid0(VALU_DEP_1) | instskip(NEXT) | instid1(TRANS32_DEP_2)
	v_exp_f32_e32 v7, v7
	v_ldexp_f32 v6, v6, v8
	s_delay_alu instid0(TRANS32_DEP_1) | instskip(NEXT) | instid1(VALU_DEP_2)
	v_ldexp_f32 v7, v7, v9
	v_cndmask_b32_e32 v6, 0, v6, vcc_lo
	v_cmp_ngt_f32_e32 vcc_lo, 0xc2ce8ed0, v4
	s_delay_alu instid0(VALU_DEP_3) | instskip(SKIP_1) | instid1(VALU_DEP_4)
	v_cndmask_b32_e32 v7, 0, v7, vcc_lo
	v_cmp_nlt_f32_e32 vcc_lo, 0x42b17218, v5
	v_cndmask_b32_e32 v5, 0x7f800000, v6, vcc_lo
	v_cmp_nlt_f32_e32 vcc_lo, 0x42b17218, v4
	s_delay_alu instid0(VALU_DEP_4) | instskip(NEXT) | instid1(VALU_DEP_1)
	v_cndmask_b32_e32 v4, 0x7f800000, v7, vcc_lo
	v_sub_f32_e32 v4, v5, v4
	s_delay_alu instid0(VALU_DEP_1)
	v_mul_f32_e32 v4, v11, v4
	s_branch .LBB13_12
.LBB13_15:
	s_endpgm
	.section	.rodata,"a",@progbits
	.p2align	6, 0x0
	.amdhsa_kernel _ZN2at6native12_GLOBAL__N_136ctc_loss_backward_collect_gpu_kernelIflEEvPT_PKS3_lS6_S6_S6_PKllPKT0_S8_lS6_llllllllllllS8_llllb
		.amdhsa_group_segment_fixed_size 0
		.amdhsa_private_segment_fixed_size 0
		.amdhsa_kernarg_size 496
		.amdhsa_user_sgpr_count 2
		.amdhsa_user_sgpr_dispatch_ptr 0
		.amdhsa_user_sgpr_queue_ptr 0
		.amdhsa_user_sgpr_kernarg_segment_ptr 1
		.amdhsa_user_sgpr_dispatch_id 0
		.amdhsa_user_sgpr_kernarg_preload_length 0
		.amdhsa_user_sgpr_kernarg_preload_offset 0
		.amdhsa_user_sgpr_private_segment_size 0
		.amdhsa_wavefront_size32 1
		.amdhsa_uses_dynamic_stack 0
		.amdhsa_enable_private_segment 0
		.amdhsa_system_sgpr_workgroup_id_x 1
		.amdhsa_system_sgpr_workgroup_id_y 1
		.amdhsa_system_sgpr_workgroup_id_z 0
		.amdhsa_system_sgpr_workgroup_info 0
		.amdhsa_system_vgpr_workitem_id 1
		.amdhsa_next_free_vgpr 31
		.amdhsa_next_free_sgpr 48
		.amdhsa_named_barrier_count 0
		.amdhsa_reserve_vcc 1
		.amdhsa_float_round_mode_32 0
		.amdhsa_float_round_mode_16_64 0
		.amdhsa_float_denorm_mode_32 3
		.amdhsa_float_denorm_mode_16_64 3
		.amdhsa_fp16_overflow 0
		.amdhsa_memory_ordered 1
		.amdhsa_forward_progress 1
		.amdhsa_inst_pref_size 13
		.amdhsa_round_robin_scheduling 0
		.amdhsa_exception_fp_ieee_invalid_op 0
		.amdhsa_exception_fp_denorm_src 0
		.amdhsa_exception_fp_ieee_div_zero 0
		.amdhsa_exception_fp_ieee_overflow 0
		.amdhsa_exception_fp_ieee_underflow 0
		.amdhsa_exception_fp_ieee_inexact 0
		.amdhsa_exception_int_div_zero 0
	.end_amdhsa_kernel
	.section	.text._ZN2at6native12_GLOBAL__N_136ctc_loss_backward_collect_gpu_kernelIflEEvPT_PKS3_lS6_S6_S6_PKllPKT0_S8_lS6_llllllllllllS8_llllb,"axG",@progbits,_ZN2at6native12_GLOBAL__N_136ctc_loss_backward_collect_gpu_kernelIflEEvPT_PKS3_lS6_S6_S6_PKllPKT0_S8_lS6_llllllllllllS8_llllb,comdat
.Lfunc_end13:
	.size	_ZN2at6native12_GLOBAL__N_136ctc_loss_backward_collect_gpu_kernelIflEEvPT_PKS3_lS6_S6_S6_PKllPKT0_S8_lS6_llllllllllllS8_llllb, .Lfunc_end13-_ZN2at6native12_GLOBAL__N_136ctc_loss_backward_collect_gpu_kernelIflEEvPT_PKS3_lS6_S6_S6_PKllPKT0_S8_lS6_llllllllllllS8_llllb
                                        ; -- End function
	.set _ZN2at6native12_GLOBAL__N_136ctc_loss_backward_collect_gpu_kernelIflEEvPT_PKS3_lS6_S6_S6_PKllPKT0_S8_lS6_llllllllllllS8_llllb.num_vgpr, 31
	.set _ZN2at6native12_GLOBAL__N_136ctc_loss_backward_collect_gpu_kernelIflEEvPT_PKS3_lS6_S6_S6_PKllPKT0_S8_lS6_llllllllllllS8_llllb.num_agpr, 0
	.set _ZN2at6native12_GLOBAL__N_136ctc_loss_backward_collect_gpu_kernelIflEEvPT_PKS3_lS6_S6_S6_PKllPKT0_S8_lS6_llllllllllllS8_llllb.numbered_sgpr, 48
	.set _ZN2at6native12_GLOBAL__N_136ctc_loss_backward_collect_gpu_kernelIflEEvPT_PKS3_lS6_S6_S6_PKllPKT0_S8_lS6_llllllllllllS8_llllb.num_named_barrier, 0
	.set _ZN2at6native12_GLOBAL__N_136ctc_loss_backward_collect_gpu_kernelIflEEvPT_PKS3_lS6_S6_S6_PKllPKT0_S8_lS6_llllllllllllS8_llllb.private_seg_size, 0
	.set _ZN2at6native12_GLOBAL__N_136ctc_loss_backward_collect_gpu_kernelIflEEvPT_PKS3_lS6_S6_S6_PKllPKT0_S8_lS6_llllllllllllS8_llllb.uses_vcc, 1
	.set _ZN2at6native12_GLOBAL__N_136ctc_loss_backward_collect_gpu_kernelIflEEvPT_PKS3_lS6_S6_S6_PKllPKT0_S8_lS6_llllllllllllS8_llllb.uses_flat_scratch, 0
	.set _ZN2at6native12_GLOBAL__N_136ctc_loss_backward_collect_gpu_kernelIflEEvPT_PKS3_lS6_S6_S6_PKllPKT0_S8_lS6_llllllllllllS8_llllb.has_dyn_sized_stack, 0
	.set _ZN2at6native12_GLOBAL__N_136ctc_loss_backward_collect_gpu_kernelIflEEvPT_PKS3_lS6_S6_S6_PKllPKT0_S8_lS6_llllllllllllS8_llllb.has_recursion, 0
	.set _ZN2at6native12_GLOBAL__N_136ctc_loss_backward_collect_gpu_kernelIflEEvPT_PKS3_lS6_S6_S6_PKllPKT0_S8_lS6_llllllllllllS8_llllb.has_indirect_call, 0
	.section	.AMDGPU.csdata,"",@progbits
; Kernel info:
; codeLenInByte = 1548
; TotalNumSgprs: 50
; NumVgprs: 31
; ScratchSize: 0
; MemoryBound: 0
; FloatMode: 240
; IeeeMode: 1
; LDSByteSize: 0 bytes/workgroup (compile time only)
; SGPRBlocks: 0
; VGPRBlocks: 1
; NumSGPRsForWavesPerEU: 50
; NumVGPRsForWavesPerEU: 31
; NamedBarCnt: 0
; Occupancy: 16
; WaveLimiterHint : 1
; COMPUTE_PGM_RSRC2:SCRATCH_EN: 0
; COMPUTE_PGM_RSRC2:USER_SGPR: 2
; COMPUTE_PGM_RSRC2:TRAP_HANDLER: 0
; COMPUTE_PGM_RSRC2:TGID_X_EN: 1
; COMPUTE_PGM_RSRC2:TGID_Y_EN: 1
; COMPUTE_PGM_RSRC2:TGID_Z_EN: 0
; COMPUTE_PGM_RSRC2:TIDIG_COMP_CNT: 1
	.section	.text._ZN2at6native12_GLOBAL__N_130ctc_loss_zero_padded_gradientsIfEEvPT_PKlllllll,"axG",@progbits,_ZN2at6native12_GLOBAL__N_130ctc_loss_zero_padded_gradientsIfEEvPT_PKlllllll,comdat
	.globl	_ZN2at6native12_GLOBAL__N_130ctc_loss_zero_padded_gradientsIfEEvPT_PKlllllll ; -- Begin function _ZN2at6native12_GLOBAL__N_130ctc_loss_zero_padded_gradientsIfEEvPT_PKlllllll
	.p2align	8
	.type	_ZN2at6native12_GLOBAL__N_130ctc_loss_zero_padded_gradientsIfEEvPT_PKlllllll,@function
_ZN2at6native12_GLOBAL__N_130ctc_loss_zero_padded_gradientsIfEEvPT_PKlllllll: ; @_ZN2at6native12_GLOBAL__N_130ctc_loss_zero_padded_gradientsIfEEvPT_PKlllllll
; %bb.0:
	s_clause 0x1
	s_load_b32 s2, s[0:1], 0x4c
	s_load_b128 s[12:15], s[0:1], 0x30
	s_bfe_u32 s16, ttmp6, 0x4000c
	s_bfe_u32 s17, ttmp6, 0x40010
	v_mov_b32_e32 v1, 0
	s_load_b256 s[4:11], s[0:1], 0x10
	s_add_co_i32 s16, s16, 1
	s_add_co_i32 s17, s17, 1
	s_and_b32 s3, ttmp6, 15
	s_bfe_u32 s18, ttmp6, 0x40004
	s_mul_i32 s16, ttmp9, s16
	s_mul_i32 s17, ttmp7, s17
	s_getreg_b32 s19, hwreg(HW_REG_IB_STS2, 6, 4)
	v_bfe_u32 v4, v0, 10, 10
	v_and_b32_e32 v2, 0x3ff, v0
	v_mov_b32_e32 v3, v1
	s_add_co_i32 s3, s3, s16
	s_add_co_i32 s18, s18, s17
	s_wait_kmcnt 0x0
	s_lshr_b32 s16, s2, 16
	s_and_b32 s2, s2, 0xffff
	s_cmp_eq_u32 s19, 0
	s_cselect_b32 s17, ttmp7, s18
	s_cselect_b32 s3, ttmp9, s3
	v_mad_u32 v0, s17, s16, v4
	v_mad_nc_u64_u32 v[2:3], s2, s3, v[2:3]
	s_delay_alu instid0(VALU_DEP_2) | instskip(NEXT) | instid1(VALU_DEP_2)
	v_cmp_gt_i64_e32 vcc_lo, s[12:13], v[0:1]
	v_cmp_gt_i64_e64 s2, s[10:11], v[2:3]
	s_and_b32 s2, vcc_lo, s2
	s_delay_alu instid0(SALU_CYCLE_1)
	s_and_saveexec_b32 s3, s2
	s_cbranch_execz .LBB14_9
; %bb.1:
	s_load_b64 s[2:3], s[0:1], 0x8
	v_clz_i32_u32_e32 v8, v3
	v_cmp_gt_i64_e64 s11, s[14:15], 0
	s_mov_b32 s10, -1
	v_min_u32_e32 v8, 32, v8
	s_wait_kmcnt 0x0
	v_lshl_add_u64 v[4:5], v[0:1], 3, s[2:3]
	s_mov_b64 s[2:3], 0
	global_load_b64 v[4:5], v[4:5], off
	s_wait_loadcnt 0x0
	v_xor_b32_e32 v6, v4, v5
	v_cls_i32_e32 v7, v5
	s_delay_alu instid0(VALU_DEP_2) | instskip(NEXT) | instid1(VALU_DEP_1)
	v_ashrrev_i32_e32 v6, 31, v6
	v_add_nc_u32_e32 v6, 32, v6
	s_delay_alu instid0(VALU_DEP_1) | instskip(SKIP_1) | instid1(VALU_DEP_2)
	v_add_min_u32_e64 v9, v7, -1, v6
	v_lshlrev_b64_e32 v[6:7], v8, v[2:3]
	v_lshlrev_b64_e32 v[4:5], v9, v[4:5]
	s_delay_alu instid0(VALU_DEP_2) | instskip(NEXT) | instid1(VALU_DEP_2)
	v_min_u32_e32 v6, 1, v6
	v_min_u32_e32 v4, 1, v4
	s_delay_alu instid0(VALU_DEP_1) | instskip(NEXT) | instid1(VALU_DEP_3)
	v_or_b32_e32 v4, v5, v4
	v_dual_sub_nc_u32 v6, 32, v8 :: v_dual_bitop2_b32 v5, v7, v6 bitop3:0x54
	v_sub_nc_u32_e32 v7, 32, v9
	s_delay_alu instid0(VALU_DEP_3) | instskip(NEXT) | instid1(VALU_DEP_3)
	v_cvt_f32_i32_e32 v4, v4
	v_cvt_f32_u32_e32 v5, v5
	s_delay_alu instid0(VALU_DEP_2) | instskip(NEXT) | instid1(VALU_DEP_2)
	v_ldexp_f32 v4, v4, v7
	v_ldexp_f32 v5, v5, v6
	s_delay_alu instid0(VALU_DEP_1) | instskip(SKIP_1) | instid1(SALU_CYCLE_1)
	v_cmp_ge_f32_e32 vcc_lo, v5, v4
	s_and_b32 s11, vcc_lo, s11
	s_and_b32 exec_lo, exec_lo, s11
	s_cbranch_execz .LBB14_9
; %bb.2:
	v_mul_u64_e32 v[2:3], s[4:5], v[2:3]
	v_mul_u64_e32 v[0:1], s[6:7], v[0:1]
	s_load_b64 s[0:1], s[0:1], 0x0
	v_cmp_lt_u64_e64 s4, s[14:15], 2
	s_cmp_lg_u64 s[8:9], 1
	s_cselect_b32 s5, -1, 0
	s_delay_alu instid0(SALU_CYCLE_1) | instskip(NEXT) | instid1(SALU_CYCLE_1)
	s_or_b32 s4, s4, s5
	s_and_b32 vcc_lo, exec_lo, s4
	s_cbranch_vccnz .LBB14_6
; %bb.3:
	s_wait_kmcnt 0x0
	v_lshl_add_u64 v[6:7], v[2:3], 2, s[0:1]
	v_mov_b64_e32 v[4:5], 0
	s_and_b64 s[2:3], s[14:15], 0x7ffffffffffffffe
	s_delay_alu instid0(SALU_CYCLE_1) | instskip(NEXT) | instid1(VALU_DEP_2)
	s_mov_b64 s[4:5], s[2:3]
	v_lshl_add_u64 v[6:7], v[0:1], 2, v[6:7]
.LBB14_4:                               ; =>This Inner Loop Header: Depth=1
	global_store_b64 v[6:7], v[4:5], off
	s_wait_xcnt 0x0
	v_add_nc_u64_e32 v[6:7], 8, v[6:7]
	s_add_nc_u64 s[4:5], s[4:5], -2
	s_delay_alu instid0(SALU_CYCLE_1)
	s_cmp_lg_u64 s[4:5], 0
	s_cbranch_scc1 .LBB14_4
; %bb.5:
	s_cmp_lg_u64 s[14:15], s[2:3]
	s_cselect_b32 s10, -1, 0
.LBB14_6:
	s_delay_alu instid0(SALU_CYCLE_1)
	s_and_b32 vcc_lo, exec_lo, s10
	s_cbranch_vccz .LBB14_9
; %bb.7:
	v_lshlrev_b64_e32 v[2:3], 2, v[2:3]
	s_mul_u64 s[4:5], s[2:3], s[8:9]
	s_delay_alu instid0(VALU_DEP_1) | instid1(SALU_CYCLE_1)
	v_lshl_add_u64 v[2:3], s[4:5], 2, v[2:3]
	s_delay_alu instid0(VALU_DEP_1) | instskip(SKIP_2) | instid1(VALU_DEP_2)
	v_lshl_add_u64 v[0:1], v[0:1], 2, v[2:3]
	v_mov_b32_e32 v2, 0
	s_wait_kmcnt 0x0
	v_add_nc_u64_e32 v[0:1], s[0:1], v[0:1]
	s_lshl_b64 s[0:1], s[8:9], 2
.LBB14_8:                               ; =>This Inner Loop Header: Depth=1
	s_add_nc_u64 s[2:3], s[2:3], 1
	global_store_b32 v[0:1], v2, off
	v_cmp_gt_i64_e64 s4, s[14:15], s[2:3]
	s_wait_xcnt 0x0
	v_add_nc_u64_e32 v[0:1], s[0:1], v[0:1]
	s_and_b32 vcc_lo, exec_lo, s4
	s_cbranch_vccnz .LBB14_8
.LBB14_9:
	s_endpgm
	.section	.rodata,"a",@progbits
	.p2align	6, 0x0
	.amdhsa_kernel _ZN2at6native12_GLOBAL__N_130ctc_loss_zero_padded_gradientsIfEEvPT_PKlllllll
		.amdhsa_group_segment_fixed_size 0
		.amdhsa_private_segment_fixed_size 0
		.amdhsa_kernarg_size 320
		.amdhsa_user_sgpr_count 2
		.amdhsa_user_sgpr_dispatch_ptr 0
		.amdhsa_user_sgpr_queue_ptr 0
		.amdhsa_user_sgpr_kernarg_segment_ptr 1
		.amdhsa_user_sgpr_dispatch_id 0
		.amdhsa_user_sgpr_kernarg_preload_length 0
		.amdhsa_user_sgpr_kernarg_preload_offset 0
		.amdhsa_user_sgpr_private_segment_size 0
		.amdhsa_wavefront_size32 1
		.amdhsa_uses_dynamic_stack 0
		.amdhsa_enable_private_segment 0
		.amdhsa_system_sgpr_workgroup_id_x 1
		.amdhsa_system_sgpr_workgroup_id_y 1
		.amdhsa_system_sgpr_workgroup_id_z 0
		.amdhsa_system_sgpr_workgroup_info 0
		.amdhsa_system_vgpr_workitem_id 1
		.amdhsa_next_free_vgpr 10
		.amdhsa_next_free_sgpr 20
		.amdhsa_named_barrier_count 0
		.amdhsa_reserve_vcc 1
		.amdhsa_float_round_mode_32 0
		.amdhsa_float_round_mode_16_64 0
		.amdhsa_float_denorm_mode_32 3
		.amdhsa_float_denorm_mode_16_64 3
		.amdhsa_fp16_overflow 0
		.amdhsa_memory_ordered 1
		.amdhsa_forward_progress 1
		.amdhsa_inst_pref_size 5
		.amdhsa_round_robin_scheduling 0
		.amdhsa_exception_fp_ieee_invalid_op 0
		.amdhsa_exception_fp_denorm_src 0
		.amdhsa_exception_fp_ieee_div_zero 0
		.amdhsa_exception_fp_ieee_overflow 0
		.amdhsa_exception_fp_ieee_underflow 0
		.amdhsa_exception_fp_ieee_inexact 0
		.amdhsa_exception_int_div_zero 0
	.end_amdhsa_kernel
	.section	.text._ZN2at6native12_GLOBAL__N_130ctc_loss_zero_padded_gradientsIfEEvPT_PKlllllll,"axG",@progbits,_ZN2at6native12_GLOBAL__N_130ctc_loss_zero_padded_gradientsIfEEvPT_PKlllllll,comdat
.Lfunc_end14:
	.size	_ZN2at6native12_GLOBAL__N_130ctc_loss_zero_padded_gradientsIfEEvPT_PKlllllll, .Lfunc_end14-_ZN2at6native12_GLOBAL__N_130ctc_loss_zero_padded_gradientsIfEEvPT_PKlllllll
                                        ; -- End function
	.set _ZN2at6native12_GLOBAL__N_130ctc_loss_zero_padded_gradientsIfEEvPT_PKlllllll.num_vgpr, 10
	.set _ZN2at6native12_GLOBAL__N_130ctc_loss_zero_padded_gradientsIfEEvPT_PKlllllll.num_agpr, 0
	.set _ZN2at6native12_GLOBAL__N_130ctc_loss_zero_padded_gradientsIfEEvPT_PKlllllll.numbered_sgpr, 20
	.set _ZN2at6native12_GLOBAL__N_130ctc_loss_zero_padded_gradientsIfEEvPT_PKlllllll.num_named_barrier, 0
	.set _ZN2at6native12_GLOBAL__N_130ctc_loss_zero_padded_gradientsIfEEvPT_PKlllllll.private_seg_size, 0
	.set _ZN2at6native12_GLOBAL__N_130ctc_loss_zero_padded_gradientsIfEEvPT_PKlllllll.uses_vcc, 1
	.set _ZN2at6native12_GLOBAL__N_130ctc_loss_zero_padded_gradientsIfEEvPT_PKlllllll.uses_flat_scratch, 0
	.set _ZN2at6native12_GLOBAL__N_130ctc_loss_zero_padded_gradientsIfEEvPT_PKlllllll.has_dyn_sized_stack, 0
	.set _ZN2at6native12_GLOBAL__N_130ctc_loss_zero_padded_gradientsIfEEvPT_PKlllllll.has_recursion, 0
	.set _ZN2at6native12_GLOBAL__N_130ctc_loss_zero_padded_gradientsIfEEvPT_PKlllllll.has_indirect_call, 0
	.section	.AMDGPU.csdata,"",@progbits
; Kernel info:
; codeLenInByte = 612
; TotalNumSgprs: 22
; NumVgprs: 10
; ScratchSize: 0
; MemoryBound: 0
; FloatMode: 240
; IeeeMode: 1
; LDSByteSize: 0 bytes/workgroup (compile time only)
; SGPRBlocks: 0
; VGPRBlocks: 0
; NumSGPRsForWavesPerEU: 22
; NumVGPRsForWavesPerEU: 10
; NamedBarCnt: 0
; Occupancy: 16
; WaveLimiterHint : 0
; COMPUTE_PGM_RSRC2:SCRATCH_EN: 0
; COMPUTE_PGM_RSRC2:USER_SGPR: 2
; COMPUTE_PGM_RSRC2:TRAP_HANDLER: 0
; COMPUTE_PGM_RSRC2:TGID_X_EN: 1
; COMPUTE_PGM_RSRC2:TGID_Y_EN: 1
; COMPUTE_PGM_RSRC2:TGID_Z_EN: 0
; COMPUTE_PGM_RSRC2:TIDIG_COMP_CNT: 1
	.section	.text._ZN2at6native12_GLOBAL__N_137ctc_loss_backward_log_beta_gpu_kernelIfiEEvPT_PKS3_PKllPKT0_S8_lllllllS8_lll,"axG",@progbits,_ZN2at6native12_GLOBAL__N_137ctc_loss_backward_log_beta_gpu_kernelIfiEEvPT_PKS3_PKllPKT0_S8_lllllllS8_lll,comdat
	.globl	_ZN2at6native12_GLOBAL__N_137ctc_loss_backward_log_beta_gpu_kernelIfiEEvPT_PKS3_PKllPKT0_S8_lllllllS8_lll ; -- Begin function _ZN2at6native12_GLOBAL__N_137ctc_loss_backward_log_beta_gpu_kernelIfiEEvPT_PKS3_PKllPKT0_S8_lllllllS8_lll
	.p2align	8
	.type	_ZN2at6native12_GLOBAL__N_137ctc_loss_backward_log_beta_gpu_kernelIfiEEvPT_PKS3_PKllPKT0_S8_lllllllS8_lll,@function
_ZN2at6native12_GLOBAL__N_137ctc_loss_backward_log_beta_gpu_kernelIfiEEvPT_PKS3_PKllPKT0_S8_lllllllS8_lll: ; @_ZN2at6native12_GLOBAL__N_137ctc_loss_backward_log_beta_gpu_kernelIfiEEvPT_PKS3_PKllPKT0_S8_lllllllS8_lll
; %bb.0:
	s_clause 0x1
	s_load_u16 s2, s[0:1], 0x96
	s_load_b128 s[20:23], s[0:1], 0x70
	s_bfe_u32 s3, ttmp6, 0x40010
	s_bfe_u32 s4, ttmp6, 0x40004
	s_add_co_i32 s3, s3, 1
	v_bfe_u32 v1, v0, 10, 10
	s_mul_i32 s3, ttmp7, s3
	v_mov_b32_e32 v11, 0
	s_add_co_i32 s4, s4, s3
	s_getreg_b32 s3, hwreg(HW_REG_IB_STS2, 6, 4)
	s_delay_alu instid0(SALU_CYCLE_1) | instskip(SKIP_4) | instid1(VALU_DEP_1)
	s_cmp_eq_u32 s3, 0
	s_cselect_b32 s3, ttmp7, s4
	s_wait_kmcnt 0x0
	v_mad_u32 v10, s3, s2, v1
	s_mov_b32 s2, exec_lo
	v_cmpx_gt_i64_e64 s[22:23], v[10:11]
	s_cbranch_execz .LBB15_43
; %bb.1:
	s_load_b64 s[2:3], s[0:1], 0x10
	s_wait_kmcnt 0x0
	v_lshl_add_u64 v[2:3], v[10:11], 3, s[2:3]
	global_load_b64 v[2:3], v[2:3], off
	s_wait_loadcnt 0x0
	v_cmp_ne_u64_e32 vcc_lo, 0, v[2:3]
	s_and_b32 exec_lo, exec_lo, vcc_lo
	s_cbranch_execz .LBB15_43
; %bb.2:
	s_clause 0x1
	s_load_b64 s[2:3], s[0:1], 0x28
	s_load_b64 s[4:5], s[0:1], 0x68
	v_lshlrev_b64_e32 v[4:5], 3, v[10:11]
	s_mov_b32 s29, 0
	s_wait_kmcnt 0x0
	s_delay_alu instid0(VALU_DEP_1)
	v_add_nc_u64_e32 v[6:7], s[2:3], v[4:5]
	v_add_nc_u64_e32 v[4:5], s[4:5], v[4:5]
	s_load_b256 s[4:11], s[0:1], 0x30
	s_add_nc_u64 s[2:3], s[0:1], 0x88
	global_load_b64 v[16:17], v[6:7], off
	global_load_b64 v[12:13], v[4:5], off
	s_load_b32 s12, s[2:3], 0xc
	s_wait_kmcnt 0x0
	s_lshl_b64 s[22:23], s[4:5], 1
	s_delay_alu instid0(SALU_CYCLE_1)
	s_and_b64 s[2:3], s[22:23], 0xffffffff00000000
	s_and_b32 s28, s12, 0xffff
	s_cmp_lg_u64 s[2:3], 0
	s_cbranch_scc0 .LBB15_44
; %bb.3:
	s_add_nc_u64 s[2:3], s[28:29], 0
	s_mov_b32 s15, s29
	s_xor_b64 s[2:3], s[2:3], 0
	s_mov_b32 s19, s29
	s_cvt_f32_u32 s4, s2
	s_cvt_f32_u32 s5, s3
	s_sub_nc_u64 s[12:13], 0, s[2:3]
	s_delay_alu instid0(SALU_CYCLE_2) | instskip(NEXT) | instid1(SALU_CYCLE_3)
	s_fmamk_f32 s4, s5, 0x4f800000, s4
	v_s_rcp_f32 s4, s4
	s_delay_alu instid0(TRANS32_DEP_1) | instskip(NEXT) | instid1(SALU_CYCLE_3)
	s_mul_f32 s4, s4, 0x5f7ffffc
	s_mul_f32 s5, s4, 0x2f800000
	s_delay_alu instid0(SALU_CYCLE_3) | instskip(NEXT) | instid1(SALU_CYCLE_3)
	s_trunc_f32 s5, s5
	s_fmamk_f32 s4, s5, 0xcf800000, s4
	s_cvt_u32_f32 s5, s5
	s_delay_alu instid0(SALU_CYCLE_2) | instskip(NEXT) | instid1(SALU_CYCLE_3)
	s_cvt_u32_f32 s4, s4
	s_mul_u64 s[16:17], s[12:13], s[4:5]
	s_delay_alu instid0(SALU_CYCLE_1)
	s_mul_hi_u32 s25, s4, s17
	s_mul_i32 s24, s4, s17
	s_mul_hi_u32 s14, s4, s16
	s_mul_i32 s26, s5, s16
	s_add_nc_u64 s[14:15], s[14:15], s[24:25]
	s_mul_hi_u32 s18, s5, s16
	s_mul_hi_u32 s27, s5, s17
	s_add_co_u32 s14, s14, s26
	s_add_co_ci_u32 s18, s15, s18
	s_mul_i32 s16, s5, s17
	s_add_co_ci_u32 s17, s27, 0
	s_delay_alu instid0(SALU_CYCLE_1) | instskip(SKIP_3) | instid1(SALU_CYCLE_1)
	s_add_nc_u64 s[14:15], s[18:19], s[16:17]
	s_mov_b32 s17, s29
	s_add_co_u32 s4, s4, s14
	s_cselect_b32 s14, -1, 0
	s_cmp_lg_u32 s14, 0
	s_add_co_ci_u32 s5, s5, s15
	s_mov_b32 s15, s29
	s_mul_u64 s[12:13], s[12:13], s[4:5]
	s_delay_alu instid0(SALU_CYCLE_1)
	s_mul_hi_u32 s19, s4, s13
	s_mul_i32 s18, s4, s13
	s_mul_hi_u32 s14, s4, s12
	s_mul_i32 s24, s5, s12
	s_add_nc_u64 s[14:15], s[14:15], s[18:19]
	s_mul_hi_u32 s16, s5, s12
	s_mul_hi_u32 s25, s5, s13
	s_mul_i32 s12, s5, s13
	s_add_co_u32 s13, s14, s24
	s_add_co_ci_u32 s16, s15, s16
	s_add_co_ci_u32 s13, s25, 0
	s_mov_b32 s15, s29
	s_add_nc_u64 s[12:13], s[16:17], s[12:13]
	s_delay_alu instid0(SALU_CYCLE_1) | instskip(SKIP_1) | instid1(SALU_CYCLE_1)
	s_add_co_u32 s16, s4, s12
	s_cselect_b32 s4, -1, 0
	s_cmp_lg_u32 s4, 0
	s_add_co_ci_u32 s24, s5, s13
	s_ashr_i32 s4, s23, 31
	s_delay_alu instid0(SALU_CYCLE_1) | instskip(NEXT) | instid1(SALU_CYCLE_1)
	s_mov_b32 s5, s4
	s_add_nc_u64 s[12:13], s[22:23], s[4:5]
	s_delay_alu instid0(SALU_CYCLE_1) | instskip(NEXT) | instid1(SALU_CYCLE_1)
	s_xor_b64 s[12:13], s[12:13], s[4:5]
	s_mul_hi_u32 s19, s12, s24
	s_mul_i32 s18, s12, s24
	s_mul_hi_u32 s14, s12, s16
	s_mul_hi_u32 s26, s13, s16
	s_mul_i32 s16, s13, s16
	s_add_nc_u64 s[14:15], s[14:15], s[18:19]
	s_mul_hi_u32 s25, s13, s24
	s_add_co_u32 s14, s14, s16
	s_add_co_ci_u32 s16, s15, s26
	s_mul_i32 s18, s13, s24
	s_add_co_ci_u32 s19, s25, 0
	s_delay_alu instid0(SALU_CYCLE_1) | instskip(NEXT) | instid1(SALU_CYCLE_1)
	s_add_nc_u64 s[14:15], s[16:17], s[18:19]
	s_and_b64 s[16:17], s[14:15], 0xffffffff00000000
	s_delay_alu instid0(SALU_CYCLE_1) | instskip(NEXT) | instid1(SALU_CYCLE_1)
	s_or_b32 s16, s16, s14
	s_mul_u64 s[14:15], s[2:3], s[16:17]
	s_delay_alu instid0(SALU_CYCLE_1)
	s_sub_co_u32 s12, s12, s14
	s_cselect_b32 s14, -1, 0
	s_sub_co_i32 s16, s13, s15
	s_cmp_lg_u32 s14, 0
	s_sub_co_ci_u32 s16, s16, s3
	s_sub_co_u32 s17, s12, s2
	s_cselect_b32 s18, -1, 0
	s_delay_alu instid0(SALU_CYCLE_1) | instskip(SKIP_1) | instid1(SALU_CYCLE_1)
	s_cmp_lg_u32 s18, 0
	s_sub_co_ci_u32 s19, s16, 0
	s_cmp_ge_u32 s19, s3
	s_cselect_b32 s24, -1, 0
	s_cmp_ge_u32 s17, s2
	s_cselect_b32 s25, -1, 0
	s_cmp_eq_u32 s19, s3
	s_cselect_b32 s24, s25, s24
	s_cmp_lg_u32 s18, 0
	s_sub_co_ci_u32 s16, s16, s3
	s_sub_co_u32 s18, s17, s2
	s_cselect_b32 s25, -1, 0
	s_delay_alu instid0(SALU_CYCLE_1)
	s_cmp_lg_u32 s25, 0
	s_sub_co_ci_u32 s16, s16, 0
	s_cmp_lg_u32 s24, 0
	s_cselect_b32 s17, s18, s17
	s_cselect_b32 s16, s16, s19
	s_cmp_lg_u32 s14, 0
	s_sub_co_ci_u32 s13, s13, s15
	s_delay_alu instid0(SALU_CYCLE_1)
	s_cmp_ge_u32 s13, s3
	s_cselect_b32 s14, -1, 0
	s_cmp_ge_u32 s12, s2
	s_cselect_b32 s2, -1, 0
	s_cmp_eq_u32 s13, s3
	s_cselect_b32 s2, s2, s14
	s_delay_alu instid0(SALU_CYCLE_1) | instskip(SKIP_2) | instid1(SALU_CYCLE_1)
	s_cmp_lg_u32 s2, 0
	s_cselect_b32 s3, s16, s13
	s_cselect_b32 s2, s17, s12
	s_xor_b64 s[2:3], s[2:3], s[4:5]
	s_delay_alu instid0(SALU_CYCLE_1) | instskip(SKIP_1) | instid1(SALU_CYCLE_1)
	s_sub_nc_u64 s[2:3], s[2:3], s[4:5]
	s_mov_b32 s4, s29
	s_and_not1_b32 vcc_lo, exec_lo, s4
	s_cbranch_vccnz .LBB15_5
.LBB15_4:
	v_cvt_f32_u32_e32 v1, s28
	s_sub_co_i32 s3, 0, s28
	s_delay_alu instid0(VALU_DEP_1) | instskip(SKIP_1) | instid1(TRANS32_DEP_1)
	v_rcp_iflag_f32_e32 v1, v1
	v_nop
	v_mul_f32_e32 v1, 0x4f7ffffe, v1
	s_delay_alu instid0(VALU_DEP_1) | instskip(NEXT) | instid1(VALU_DEP_1)
	v_cvt_u32_f32_e32 v1, v1
	v_readfirstlane_b32 s2, v1
	s_mul_i32 s3, s3, s2
	s_delay_alu instid0(SALU_CYCLE_1) | instskip(NEXT) | instid1(SALU_CYCLE_1)
	s_mul_hi_u32 s3, s2, s3
	s_add_co_i32 s2, s2, s3
	s_delay_alu instid0(SALU_CYCLE_1) | instskip(NEXT) | instid1(SALU_CYCLE_1)
	s_mul_hi_u32 s2, s22, s2
	s_mul_i32 s2, s2, s28
	s_delay_alu instid0(SALU_CYCLE_1) | instskip(NEXT) | instid1(SALU_CYCLE_1)
	s_sub_co_i32 s2, s22, s2
	s_sub_co_i32 s3, s2, s28
	s_cmp_ge_u32 s2, s28
	s_cselect_b32 s2, s3, s2
	s_mov_b32 s3, 0
	s_sub_co_i32 s4, s2, s28
	s_cmp_ge_u32 s2, s28
	s_cselect_b32 s2, s4, s2
.LBB15_5:
	s_delay_alu instid0(SALU_CYCLE_1) | instskip(NEXT) | instid1(SALU_CYCLE_1)
	s_sub_nc_u64 s[30:31], s[22:23], s[2:3]
	v_cmp_lt_i64_e64 s4, s[30:31], 0
	s_and_b32 vcc_lo, exec_lo, s4
	s_cbranch_vccnz .LBB15_43
; %bb.6:
	s_load_b256 s[12:19], s[0:1], 0x50
	v_and_b32_e32 v0, 0x3ff, v0
	v_mov_b32_e32 v1, 0
	v_add_nc_u64_e32 v[6:7], -1, v[2:3]
	v_mul_u64_e32 v[22:23], s[8:9], v[10:11]
	s_load_b128 s[24:27], s[0:1], 0x0
	s_delay_alu instid0(VALU_DEP_3) | instskip(NEXT) | instid1(VALU_DEP_3)
	v_add_nc_u64_e32 v[4:5], s[22:23], v[0:1]
	v_mul_u64_e32 v[26:27], s[6:7], v[6:7]
	s_delay_alu instid0(VALU_DEP_2)
	v_sub_nc_u64_e64 v[14:15], v[4:5], s[2:3]
	s_wait_loadcnt 0x1
	v_lshlrev_b64_e32 v[4:5], 1, v[16:17]
	s_clause 0x1
	s_load_b64 s[2:3], s[0:1], 0x20
	s_load_b64 s[8:9], s[0:1], 0x80
	s_wait_kmcnt 0x0
	v_mul_u64_e32 v[20:21], s[12:13], v[10:11]
	v_mul_u64_e32 v[18:19], s[16:17], v[14:15]
	v_add_nc_u64_e32 v[8:9], -1, v[4:5]
	v_mul_u64_e32 v[24:25], s[14:15], v[6:7]
	s_mul_u64 s[4:5], s[16:17], s[28:29]
	s_delay_alu instid0(VALU_DEP_2) | instskip(SKIP_2) | instid1(VALU_DEP_2)
	v_lshrrev_b64 v[10:11], 1, v[8:9]
	s_wait_loadcnt 0x0
	v_lshl_add_u64 v[12:13], v[12:13], 2, s[2:3]
	v_mul_u64_e32 v[32:33], s[20:21], v[10:11]
	v_lshl_add_u64 v[28:29], v[22:23], 2, s[26:27]
	s_mul_u64 s[2:3], s[8:9], s[10:11]
	v_lshlrev_b64_e32 v[10:11], 2, v[20:21]
	v_lshlrev_b64_e32 v[18:19], 2, v[18:19]
	v_sub_nc_u64_e32 v[20:21], v[4:5], v[0:1]
	s_delay_alu instid0(VALU_DEP_2) | instskip(NEXT) | instid1(VALU_DEP_1)
	v_lshl_add_u64 v[24:25], v[24:25], 2, v[18:19]
	v_add_nc_u64_e32 v[30:31], v[24:25], v[10:11]
	v_lshl_add_u64 v[24:25], v[26:27], 2, v[28:29]
	v_lshl_add_u64 v[32:33], v[32:33], 2, v[12:13]
	s_delay_alu instid0(VALU_DEP_2) | instskip(NEXT) | instid1(VALU_DEP_4)
	v_lshl_add_u64 v[26:27], s[2:3], 2, v[24:25]
	v_add_nc_u64_e32 v[28:29], s[24:25], v[30:31]
	v_add_nc_u64_e32 v[30:31], -1, v[20:21]
	s_lshl_b64 s[2:3], s[4:5], 2
	s_delay_alu instid0(SALU_CYCLE_1)
	s_sub_nc_u64 s[12:13], 0, s[2:3]
	s_mov_b64 s[2:3], s[30:31]
	s_branch .LBB15_8
.LBB15_7:                               ;   in Loop: Header=BB15_8 Depth=1
	s_wait_xcnt 0x0
	s_or_b32 exec_lo, exec_lo, s4
	s_sub_nc_u64 s[2:3], s[2:3], s[28:29]
	v_add_nc_u64_e32 v[28:29], s[12:13], v[28:29]
	v_cmp_lt_i64_e64 s4, s[2:3], 0
	s_and_b32 vcc_lo, exec_lo, s4
	s_cbranch_vccnz .LBB15_16
.LBB15_8:                               ; =>This Inner Loop Header: Depth=1
	s_mov_b32 s4, exec_lo
                                        ; implicit-def: $vgpr34
	v_cmpx_ne_u64_e64 s[2:3], v[20:21]
	s_xor_b32 s4, exec_lo, s4
	s_cbranch_execz .LBB15_12
; %bb.9:                                ;   in Loop: Header=BB15_8 Depth=1
	s_wait_loadcnt 0x0
	v_mov_b32_e32 v34, 0xff800000
	s_mov_b32 s5, exec_lo
	v_cmpx_eq_u64_e64 s[2:3], v[30:31]
	s_cbranch_execz .LBB15_11
; %bb.10:                               ;   in Loop: Header=BB15_8 Depth=1
	global_load_b32 v34, v[32:33], off
	s_wait_loadcnt 0x0
	v_ashrrev_i32_e32 v35, 31, v34
	s_delay_alu instid0(VALU_DEP_1) | instskip(NEXT) | instid1(VALU_DEP_1)
	v_mul_u64_e32 v[34:35], s[10:11], v[34:35]
	v_lshl_add_u64 v[34:35], v[34:35], 2, v[24:25]
	global_load_b32 v34, v[34:35], off
.LBB15_11:                              ;   in Loop: Header=BB15_8 Depth=1
	s_wait_xcnt 0x0
	s_or_b32 exec_lo, exec_lo, s5
.LBB15_12:                              ;   in Loop: Header=BB15_8 Depth=1
	s_and_not1_saveexec_b32 s4, s4
	s_cbranch_execz .LBB15_14
; %bb.13:                               ;   in Loop: Header=BB15_8 Depth=1
	s_wait_loadcnt 0x0
	global_load_b32 v34, v[26:27], off
.LBB15_14:                              ;   in Loop: Header=BB15_8 Depth=1
	s_wait_xcnt 0x0
	s_or_b32 exec_lo, exec_lo, s4
	v_add_nc_u64_e32 v[36:37], s[2:3], v[0:1]
	s_mov_b32 s4, exec_lo
	s_delay_alu instid0(VALU_DEP_1)
	v_cmpx_ge_i64_e64 s[22:23], v[36:37]
	s_cbranch_execz .LBB15_7
; %bb.15:                               ;   in Loop: Header=BB15_8 Depth=1
	s_wait_loadcnt 0x0
	global_store_b32 v[28:29], v34, off
	s_branch .LBB15_7
.LBB15_16:
	s_load_b64 s[2:3], s[0:1], 0x18
	v_add_nc_u64_e32 v[20:21], 2, v[14:15]
	v_lshl_add_u64 v[24:25], v[14:15], 2, 4
	s_delay_alu instid0(VALU_DEP_2)
	v_mul_u64_e32 v[20:21], s[16:17], v[20:21]
	s_wait_kmcnt 0x0
	s_add_nc_u64 s[0:1], s[2:3], -1
	s_add_nc_u64 s[18:19], s[2:3], -2
	s_mul_u64 s[0:1], s[14:15], s[0:1]
	s_mul_u64 s[34:35], s[14:15], s[18:19]
	s_lshl_b64 s[0:1], s[0:1], 2
	s_lshl_b64 s[34:35], s[34:35], 2
	s_add_nc_u64 s[4:5], s[24:25], s[0:1]
	s_add_nc_u64 s[24:25], s[24:25], s[34:35]
	v_mad_nc_u64_u32 v[14:15], s16, v24, s[4:5]
	s_mul_u64 s[34:35], s[6:7], s[18:19]
	v_cmp_lt_i64_e64 s0, 0, v[16:17]
	v_cmp_ne_u64_e64 s1, 0, v[16:17]
	v_add_nc_u64_e32 v[16:17], s[24:25], v[18:19]
	v_add_nc_u64_e32 v[18:19], s[4:5], v[18:19]
	s_lshl_b64 s[14:15], s[14:15], 2
	s_delay_alu instid0(SALU_CYCLE_1)
	s_sub_nc_u64 s[14:15], 0, s[14:15]
	v_mad_u32 v15, s17, v24, v15
	v_lshl_add_u64 v[20:21], v[20:21], 2, s[4:5]
	v_cmp_gt_i64_e64 s5, s[2:3], 1
	s_lshl_b64 s[2:3], s[6:7], 2
	s_lshl_b64 s[6:7], s[10:11], 2
	s_sub_nc_u64 s[10:11], 0, s[2:3]
	v_mad_u32 v15, s16, v25, v15
	s_lshl_b64 s[16:17], s[34:35], 2
	s_delay_alu instid0(SALU_CYCLE_1) | instskip(NEXT) | instid1(SALU_CYCLE_1)
	s_add_nc_u64 s[16:17], s[26:27], s[16:17]
	v_lshl_add_u64 v[22:23], v[22:23], 2, s[16:17]
	s_branch .LBB15_18
.LBB15_17:                              ;   in Loop: Header=BB15_18 Depth=1
	s_sub_nc_u64 s[30:31], s[30:31], s[28:29]
	v_add_nc_u64_e32 v[16:17], s[12:13], v[16:17]
	v_cmp_lt_i64_e64 s2, s[30:31], 0
	v_add_nc_u64_e32 v[14:15], s[12:13], v[14:15]
	v_add_nc_u64_e32 v[18:19], s[12:13], v[18:19]
	;; [unrolled: 1-line block ×3, first 2 shown]
	s_and_b32 vcc_lo, exec_lo, s2
	s_cbranch_vccnz .LBB15_43
.LBB15_18:                              ; =>This Loop Header: Depth=1
                                        ;     Child Loop BB15_29 Depth 2
	v_add_nc_u64_e32 v[26:27], s[30:31], v[0:1]
	v_mov_b64_e32 v[28:29], s[8:9]
	s_mov_b32 s24, 0
	s_delay_alu instid0(VALU_DEP_2) | instskip(SKIP_1) | instid1(SALU_CYCLE_1)
	v_cmp_le_i64_e64 s3, v[26:27], v[4:5]
	s_and_b32 s2, s0, s3
	s_and_saveexec_b32 s4, s2
	s_cbranch_execz .LBB15_26
; %bb.19:                               ;   in Loop: Header=BB15_18 Depth=1
	v_and_b32_e32 v24, 1, v26
	v_mov_b64_e32 v[28:29], s[8:9]
	s_delay_alu instid0(VALU_DEP_2)
	v_cmp_eq_u32_e32 vcc_lo, 1, v24
	s_and_saveexec_b32 s2, vcc_lo
	s_cbranch_execz .LBB15_21
; %bb.20:                               ;   in Loop: Header=BB15_18 Depth=1
	v_lshrrev_b64 v[24:25], 1, v[26:27]
	s_delay_alu instid0(VALU_DEP_1) | instskip(NEXT) | instid1(VALU_DEP_1)
	v_mul_u64_e32 v[24:25], s[20:21], v[24:25]
	v_lshl_add_u64 v[24:25], v[24:25], 2, v[12:13]
	global_load_b32 v28, v[24:25], off
	s_wait_loadcnt 0x0
	v_ashrrev_i32_e32 v29, 31, v28
.LBB15_21:                              ;   in Loop: Header=BB15_18 Depth=1
	s_wait_xcnt 0x0
	s_or_b32 exec_lo, exec_lo, s2
	s_mov_b32 s17, 0
	s_mov_b32 s16, exec_lo
	v_cmpx_lt_i64_e64 v[26:27], v[8:9]
	s_cbranch_execz .LBB15_25
; %bb.22:                               ;   in Loop: Header=BB15_18 Depth=1
	v_mov_b64_e32 v[24:25], s[8:9]
	s_and_saveexec_b32 s2, vcc_lo
	s_cbranch_execz .LBB15_24
; %bb.23:                               ;   in Loop: Header=BB15_18 Depth=1
	v_add_nc_u64_e32 v[24:25], 2, v[26:27]
	s_delay_alu instid0(VALU_DEP_1) | instskip(NEXT) | instid1(VALU_DEP_1)
	v_lshrrev_b64 v[24:25], 1, v[24:25]
	v_mul_u64_e32 v[24:25], s[20:21], v[24:25]
	s_delay_alu instid0(VALU_DEP_1)
	v_lshl_add_u64 v[24:25], v[24:25], 2, v[12:13]
	global_load_b32 v24, v[24:25], off
	s_wait_loadcnt 0x0
	v_ashrrev_i32_e32 v25, 31, v24
.LBB15_24:                              ;   in Loop: Header=BB15_18 Depth=1
	s_or_b32 exec_lo, exec_lo, s2
	s_delay_alu instid0(VALU_DEP_1)
	v_cmp_ne_u64_e32 vcc_lo, v[24:25], v[28:29]
	s_and_b32 s17, vcc_lo, exec_lo
.LBB15_25:                              ;   in Loop: Header=BB15_18 Depth=1
	s_or_b32 exec_lo, exec_lo, s16
	s_delay_alu instid0(SALU_CYCLE_1)
	s_and_b32 s24, s17, exec_lo
.LBB15_26:                              ;   in Loop: Header=BB15_18 Depth=1
	s_or_b32 exec_lo, exec_lo, s4
	s_delay_alu instid0(SALU_CYCLE_1)
	s_and_not1_b32 vcc_lo, exec_lo, s5
	s_cbranch_vccnz .LBB15_17
; %bb.27:                               ;   in Loop: Header=BB15_18 Depth=1
	v_mad_nc_u64_u32 v[24:25], s6, v28, v[22:23]
	v_cmp_gt_i64_e64 s2, 1, v[26:27]
	v_cmp_lt_i64_e32 vcc_lo, s[22:23], v[26:27]
	v_mov_b64_e32 v[30:31], v[14:15]
	v_mov_b64_e32 v[32:33], v[16:17]
	s_xor_b32 s26, s3, -1
	s_mov_b64 s[16:17], s[18:19]
	s_or_b32 s4, s1, s2
	v_cmp_lt_i64_e64 s2, v[26:27], v[4:5]
	v_mov_b64_e32 v[26:27], v[20:21]
	v_mad_u32 v25, s7, v28, v25
	s_and_b32 s25, s4, s3
	s_delay_alu instid0(VALU_DEP_1)
	v_mad_u32 v25, s6, v29, v25
	v_mov_b64_e32 v[28:29], v[18:19]
	s_branch .LBB15_29
.LBB15_28:                              ;   in Loop: Header=BB15_29 Depth=2
	s_wait_xcnt 0x0
	s_or_b32 exec_lo, exec_lo, s3
	v_add_nc_u64_e32 v[32:33], s[14:15], v[32:33]
	v_add_nc_u64_e32 v[30:31], s[14:15], v[30:31]
	;; [unrolled: 1-line block ×5, first 2 shown]
	s_add_nc_u64 s[16:17], s[16:17], -1
	s_delay_alu instid0(SALU_CYCLE_1)
	s_cmp_eq_u64 s[16:17], -1
	s_cbranch_scc1 .LBB15_17
.LBB15_29:                              ;   Parent Loop BB15_18 Depth=1
                                        ; =>  This Inner Loop Header: Depth=2
	v_cmp_ge_i64_e64 s3, s[16:17], v[6:7]
	s_mov_b32 s27, 0
	s_wait_loadcnt 0x0
	s_wait_storecnt 0x0
	s_barrier_signal -1
	s_barrier_wait -1
	s_or_b32 s3, s26, s3
	s_delay_alu instid0(SALU_CYCLE_1) | instskip(NEXT) | instid1(SALU_CYCLE_1)
	s_and_saveexec_b32 s4, s3
	s_xor_b32 s4, exec_lo, s4
	s_cbranch_execnz .LBB15_32
; %bb.30:                               ;   in Loop: Header=BB15_29 Depth=2
	s_or_saveexec_b32 s33, s4
	v_mov_b32_e32 v34, 0xff800000
	s_xor_b32 exec_lo, exec_lo, s33
	s_cbranch_execnz .LBB15_33
.LBB15_31:                              ;   in Loop: Header=BB15_29 Depth=2
	s_or_b32 exec_lo, exec_lo, s33
	s_and_saveexec_b32 s3, s27
	s_cbranch_execz .LBB15_28
	s_branch .LBB15_42
.LBB15_32:                              ;   in Loop: Header=BB15_29 Depth=2
	v_cmp_lt_i64_e64 s3, s[16:17], v[2:3]
	s_and_b32 s3, s3, s25
	s_delay_alu instid0(SALU_CYCLE_1) | instskip(NEXT) | instid1(SALU_CYCLE_1)
	s_nor_b32 s3, vcc_lo, s3
	s_and_b32 s27, s3, exec_lo
	s_or_saveexec_b32 s33, s4
	v_mov_b32_e32 v34, 0xff800000
	s_xor_b32 exec_lo, exec_lo, s33
	s_cbranch_execz .LBB15_31
.LBB15_33:                              ;   in Loop: Header=BB15_29 Depth=2
	v_add_nc_u64_e32 v[34:35], v[28:29], v[10:11]
	v_mov_b32_e32 v36, 0xff800000
	global_load_b32 v35, v[34:35], off
	s_wait_loadcnt 0x0
	v_dual_mov_b32 v34, 0xff800000 :: v_dual_mov_b32 v37, v35
	s_and_saveexec_b32 s4, s2
	s_cbranch_execz .LBB15_37
; %bb.34:                               ;   in Loop: Header=BB15_29 Depth=2
	v_add_nc_u64_e32 v[36:37], v[30:31], v[10:11]
	s_mov_b32 s34, exec_lo
	global_load_b32 v36, v[36:37], off
	s_wait_xcnt 0x0
	v_mov_b32_e32 v37, v35
	s_wait_loadcnt 0x0
	v_cmpx_gt_f32_e32 v36, v35
; %bb.35:                               ;   in Loop: Header=BB15_29 Depth=2
	v_mov_b32_e32 v37, v36
; %bb.36:                               ;   in Loop: Header=BB15_29 Depth=2
	s_or_b32 exec_lo, exec_lo, s34
.LBB15_37:                              ;   in Loop: Header=BB15_29 Depth=2
	s_delay_alu instid0(SALU_CYCLE_1)
	s_or_b32 exec_lo, exec_lo, s4
	s_and_saveexec_b32 s4, s24
	s_cbranch_execz .LBB15_41
; %bb.38:                               ;   in Loop: Header=BB15_29 Depth=2
	v_add_nc_u64_e32 v[38:39], v[26:27], v[10:11]
	s_mov_b32 s34, exec_lo
	global_load_b32 v34, v[38:39], off
	s_wait_loadcnt 0x0
	v_cmpx_gt_f32_e32 v34, v37
; %bb.39:                               ;   in Loop: Header=BB15_29 Depth=2
	v_mov_b32_e32 v37, v34
; %bb.40:                               ;   in Loop: Header=BB15_29 Depth=2
	s_or_b32 exec_lo, exec_lo, s34
.LBB15_41:                              ;   in Loop: Header=BB15_29 Depth=2
	s_delay_alu instid0(SALU_CYCLE_1) | instskip(SKIP_4) | instid1(VALU_DEP_1)
	s_or_b32 exec_lo, exec_lo, s4
	global_load_b32 v38, v[24:25], off
	v_cmp_neq_f32_e64 s3, 0xff800000, v37
	s_or_b32 s27, s27, exec_lo
	v_cndmask_b32_e64 v37, 0, v37, s3
	v_sub_f32_e32 v35, v35, v37
	s_delay_alu instid0(VALU_DEP_1) | instskip(NEXT) | instid1(VALU_DEP_1)
	v_mul_f32_e32 v39, 0x3fb8aa3b, v35
	v_rndne_f32_e32 v42, v39
	v_fma_f32 v41, 0x3fb8aa3b, v35, -v39
	s_delay_alu instid0(VALU_DEP_2) | instskip(NEXT) | instid1(VALU_DEP_2)
	v_dual_sub_f32 v39, v39, v42 :: v_dual_sub_f32 v36, v36, v37
	v_dual_sub_f32 v34, v34, v37 :: v_dual_fmac_f32 v41, 0x32a5705f, v35
	v_cvt_i32_f32_e32 v42, v42
	v_cmp_ngt_f32_e64 s3, 0xc2ce8ed0, v35
	s_delay_alu instid0(VALU_DEP_4) | instskip(NEXT) | instid1(VALU_DEP_1)
	v_mul_f32_e32 v40, 0x3fb8aa3b, v36
	v_rndne_f32_e32 v44, v40
	v_mul_f32_e32 v45, 0x3fb8aa3b, v34
	v_fma_f32 v43, 0x3fb8aa3b, v36, -v40
	s_delay_alu instid0(VALU_DEP_3) | instskip(NEXT) | instid1(VALU_DEP_3)
	v_sub_f32_e32 v40, v40, v44
	v_fma_f32 v46, 0x3fb8aa3b, v34, -v45
	s_delay_alu instid0(VALU_DEP_3) | instskip(SKIP_1) | instid1(VALU_DEP_3)
	v_fmac_f32_e32 v43, 0x32a5705f, v36
	v_rndne_f32_e32 v47, v45
	v_dual_fmac_f32 v46, 0x32a5705f, v34 :: v_dual_add_f32 v39, v39, v41
	s_delay_alu instid0(VALU_DEP_3) | instskip(SKIP_1) | instid1(VALU_DEP_3)
	v_add_f32_e32 v40, v40, v43
	v_cvt_i32_f32_e32 v43, v44
	v_exp_f32_e32 v39, v39
	s_delay_alu instid0(VALU_DEP_2) | instskip(NEXT) | instid1(TRANS32_DEP_2)
	v_exp_f32_e32 v40, v40
	v_ldexp_f32 v39, v39, v42
	s_delay_alu instid0(TRANS32_DEP_1) | instskip(SKIP_1) | instid1(VALU_DEP_3)
	v_ldexp_f32 v40, v40, v43
	v_cvt_i32_f32_e32 v42, v47
	v_cndmask_b32_e64 v39, 0, v39, s3
	v_cmp_ngt_f32_e64 s3, 0xc2ce8ed0, v36
	s_delay_alu instid0(VALU_DEP_1) | instskip(SKIP_1) | instid1(VALU_DEP_1)
	v_dual_sub_f32 v41, v45, v47 :: v_dual_cndmask_b32 v40, 0, v40, s3
	v_cmp_nlt_f32_e64 s3, 0x42b17218, v35
	v_cndmask_b32_e64 v35, 0x7f800000, v39, s3
	v_cmp_nlt_f32_e64 s3, 0x42b17218, v36
	s_delay_alu instid0(VALU_DEP_1) | instskip(SKIP_2) | instid1(VALU_DEP_3)
	v_cndmask_b32_e64 v36, 0x7f800000, v40, s3
	v_add_f32_e32 v41, v41, v46
	v_cmp_ngt_f32_e64 s3, 0xc2ce8ed0, v34
	v_add_f32_e32 v35, v35, v36
	s_delay_alu instid0(VALU_DEP_3) | instskip(SKIP_1) | instid1(TRANS32_DEP_1)
	v_exp_f32_e32 v41, v41
	v_nop
	v_ldexp_f32 v41, v41, v42
	s_delay_alu instid0(VALU_DEP_1) | instskip(SKIP_1) | instid1(VALU_DEP_1)
	v_cndmask_b32_e64 v39, 0, v41, s3
	v_cmp_nlt_f32_e64 s3, 0x42b17218, v34
	v_cndmask_b32_e64 v34, 0x7f800000, v39, s3
	s_delay_alu instid0(VALU_DEP_1) | instskip(NEXT) | instid1(VALU_DEP_1)
	v_add_f32_e32 v34, v34, v35
	v_cmp_gt_f32_e64 s3, 0x800000, v34
	s_delay_alu instid0(VALU_DEP_1) | instskip(NEXT) | instid1(VALU_DEP_1)
	v_cndmask_b32_e64 v35, 0, 32, s3
	v_ldexp_f32 v34, v34, v35
	s_delay_alu instid0(VALU_DEP_1) | instskip(SKIP_1) | instid1(TRANS32_DEP_1)
	v_log_f32_e32 v34, v34
	v_nop
	v_mul_f32_e32 v35, 0x3f317217, v34
	v_cmp_gt_f32_e64 s4, 0x7f800000, |v34|
	s_delay_alu instid0(VALU_DEP_2) | instskip(NEXT) | instid1(VALU_DEP_1)
	v_fma_f32 v35, 0x3f317217, v34, -v35
	v_fmac_f32_e32 v35, 0x3377d1cf, v34
	s_delay_alu instid0(VALU_DEP_1) | instskip(NEXT) | instid1(VALU_DEP_1)
	v_fmac_f32_e32 v35, 0x3f317217, v34
	v_cndmask_b32_e64 v34, v34, v35, s4
	v_cndmask_b32_e64 v35, 0, 0x41b17218, s3
	s_delay_alu instid0(VALU_DEP_1) | instskip(NEXT) | instid1(VALU_DEP_1)
	v_sub_f32_e32 v34, v34, v35
	v_add_f32_e32 v34, v37, v34
	s_wait_loadcnt 0x0
	s_delay_alu instid0(VALU_DEP_1)
	v_add_f32_e32 v34, v38, v34
	s_or_b32 exec_lo, exec_lo, s33
	s_and_saveexec_b32 s3, s27
	s_cbranch_execz .LBB15_28
.LBB15_42:                              ;   in Loop: Header=BB15_29 Depth=2
	v_add_nc_u64_e32 v[36:37], v[32:33], v[10:11]
	global_store_b32 v[36:37], v34, off
	s_branch .LBB15_28
.LBB15_43:
	s_endpgm
.LBB15_44:
                                        ; implicit-def: $sgpr2_sgpr3
	s_branch .LBB15_4
	.section	.rodata,"a",@progbits
	.p2align	6, 0x0
	.amdhsa_kernel _ZN2at6native12_GLOBAL__N_137ctc_loss_backward_log_beta_gpu_kernelIfiEEvPT_PKS3_PKllPKT0_S8_lllllllS8_lll
		.amdhsa_group_segment_fixed_size 0
		.amdhsa_private_segment_fixed_size 0
		.amdhsa_kernarg_size 392
		.amdhsa_user_sgpr_count 2
		.amdhsa_user_sgpr_dispatch_ptr 0
		.amdhsa_user_sgpr_queue_ptr 0
		.amdhsa_user_sgpr_kernarg_segment_ptr 1
		.amdhsa_user_sgpr_dispatch_id 0
		.amdhsa_user_sgpr_kernarg_preload_length 0
		.amdhsa_user_sgpr_kernarg_preload_offset 0
		.amdhsa_user_sgpr_private_segment_size 0
		.amdhsa_wavefront_size32 1
		.amdhsa_uses_dynamic_stack 0
		.amdhsa_enable_private_segment 0
		.amdhsa_system_sgpr_workgroup_id_x 1
		.amdhsa_system_sgpr_workgroup_id_y 1
		.amdhsa_system_sgpr_workgroup_id_z 0
		.amdhsa_system_sgpr_workgroup_info 0
		.amdhsa_system_vgpr_workitem_id 1
		.amdhsa_next_free_vgpr 48
		.amdhsa_next_free_sgpr 36
		.amdhsa_named_barrier_count 0
		.amdhsa_reserve_vcc 1
		.amdhsa_float_round_mode_32 0
		.amdhsa_float_round_mode_16_64 0
		.amdhsa_float_denorm_mode_32 3
		.amdhsa_float_denorm_mode_16_64 3
		.amdhsa_fp16_overflow 0
		.amdhsa_memory_ordered 1
		.amdhsa_forward_progress 1
		.amdhsa_inst_pref_size 23
		.amdhsa_round_robin_scheduling 0
		.amdhsa_exception_fp_ieee_invalid_op 0
		.amdhsa_exception_fp_denorm_src 0
		.amdhsa_exception_fp_ieee_div_zero 0
		.amdhsa_exception_fp_ieee_overflow 0
		.amdhsa_exception_fp_ieee_underflow 0
		.amdhsa_exception_fp_ieee_inexact 0
		.amdhsa_exception_int_div_zero 0
	.end_amdhsa_kernel
	.section	.text._ZN2at6native12_GLOBAL__N_137ctc_loss_backward_log_beta_gpu_kernelIfiEEvPT_PKS3_PKllPKT0_S8_lllllllS8_lll,"axG",@progbits,_ZN2at6native12_GLOBAL__N_137ctc_loss_backward_log_beta_gpu_kernelIfiEEvPT_PKS3_PKllPKT0_S8_lllllllS8_lll,comdat
.Lfunc_end15:
	.size	_ZN2at6native12_GLOBAL__N_137ctc_loss_backward_log_beta_gpu_kernelIfiEEvPT_PKS3_PKllPKT0_S8_lllllllS8_lll, .Lfunc_end15-_ZN2at6native12_GLOBAL__N_137ctc_loss_backward_log_beta_gpu_kernelIfiEEvPT_PKS3_PKllPKT0_S8_lllllllS8_lll
                                        ; -- End function
	.set _ZN2at6native12_GLOBAL__N_137ctc_loss_backward_log_beta_gpu_kernelIfiEEvPT_PKS3_PKllPKT0_S8_lllllllS8_lll.num_vgpr, 48
	.set _ZN2at6native12_GLOBAL__N_137ctc_loss_backward_log_beta_gpu_kernelIfiEEvPT_PKS3_PKllPKT0_S8_lllllllS8_lll.num_agpr, 0
	.set _ZN2at6native12_GLOBAL__N_137ctc_loss_backward_log_beta_gpu_kernelIfiEEvPT_PKS3_PKllPKT0_S8_lllllllS8_lll.numbered_sgpr, 36
	.set _ZN2at6native12_GLOBAL__N_137ctc_loss_backward_log_beta_gpu_kernelIfiEEvPT_PKS3_PKllPKT0_S8_lllllllS8_lll.num_named_barrier, 0
	.set _ZN2at6native12_GLOBAL__N_137ctc_loss_backward_log_beta_gpu_kernelIfiEEvPT_PKS3_PKllPKT0_S8_lllllllS8_lll.private_seg_size, 0
	.set _ZN2at6native12_GLOBAL__N_137ctc_loss_backward_log_beta_gpu_kernelIfiEEvPT_PKS3_PKllPKT0_S8_lllllllS8_lll.uses_vcc, 1
	.set _ZN2at6native12_GLOBAL__N_137ctc_loss_backward_log_beta_gpu_kernelIfiEEvPT_PKS3_PKllPKT0_S8_lllllllS8_lll.uses_flat_scratch, 0
	.set _ZN2at6native12_GLOBAL__N_137ctc_loss_backward_log_beta_gpu_kernelIfiEEvPT_PKS3_PKllPKT0_S8_lllllllS8_lll.has_dyn_sized_stack, 0
	.set _ZN2at6native12_GLOBAL__N_137ctc_loss_backward_log_beta_gpu_kernelIfiEEvPT_PKS3_PKllPKT0_S8_lllllllS8_lll.has_recursion, 0
	.set _ZN2at6native12_GLOBAL__N_137ctc_loss_backward_log_beta_gpu_kernelIfiEEvPT_PKS3_PKllPKT0_S8_lllllllS8_lll.has_indirect_call, 0
	.section	.AMDGPU.csdata,"",@progbits
; Kernel info:
; codeLenInByte = 2864
; TotalNumSgprs: 38
; NumVgprs: 48
; ScratchSize: 0
; MemoryBound: 0
; FloatMode: 240
; IeeeMode: 1
; LDSByteSize: 0 bytes/workgroup (compile time only)
; SGPRBlocks: 0
; VGPRBlocks: 2
; NumSGPRsForWavesPerEU: 38
; NumVGPRsForWavesPerEU: 48
; NamedBarCnt: 0
; Occupancy: 16
; WaveLimiterHint : 1
; COMPUTE_PGM_RSRC2:SCRATCH_EN: 0
; COMPUTE_PGM_RSRC2:USER_SGPR: 2
; COMPUTE_PGM_RSRC2:TRAP_HANDLER: 0
; COMPUTE_PGM_RSRC2:TGID_X_EN: 1
; COMPUTE_PGM_RSRC2:TGID_Y_EN: 1
; COMPUTE_PGM_RSRC2:TGID_Z_EN: 0
; COMPUTE_PGM_RSRC2:TIDIG_COMP_CNT: 1
	.section	.text._ZN2at6native12_GLOBAL__N_145ctc_loss_backward_collect_nonblank_gpu_kernelIfiEEvPT_PKS3_lS6_S6_S6_PKlPKT0_S8_S6_llllllllllllS8_llb,"axG",@progbits,_ZN2at6native12_GLOBAL__N_145ctc_loss_backward_collect_nonblank_gpu_kernelIfiEEvPT_PKS3_lS6_S6_S6_PKlPKT0_S8_S6_llllllllllllS8_llb,comdat
	.globl	_ZN2at6native12_GLOBAL__N_145ctc_loss_backward_collect_nonblank_gpu_kernelIfiEEvPT_PKS3_lS6_S6_S6_PKlPKT0_S8_S6_llllllllllllS8_llb ; -- Begin function _ZN2at6native12_GLOBAL__N_145ctc_loss_backward_collect_nonblank_gpu_kernelIfiEEvPT_PKS3_lS6_S6_S6_PKlPKT0_S8_S6_llllllllllllS8_llb
	.p2align	8
	.type	_ZN2at6native12_GLOBAL__N_145ctc_loss_backward_collect_nonblank_gpu_kernelIfiEEvPT_PKS3_lS6_S6_S6_PKlPKT0_S8_S6_llllllllllllS8_llb,@function
_ZN2at6native12_GLOBAL__N_145ctc_loss_backward_collect_nonblank_gpu_kernelIfiEEvPT_PKS3_lS6_S6_S6_PKlPKT0_S8_S6_llllllllllllS8_llb: ; @_ZN2at6native12_GLOBAL__N_145ctc_loss_backward_collect_nonblank_gpu_kernelIfiEEvPT_PKS3_lS6_S6_S6_PKlPKT0_S8_S6_llllllllllllS8_llb
; %bb.0:
	s_clause 0x1
	s_load_b32 s2, s[0:1], 0xdc
	s_load_b128 s[4:7], s[0:1], 0xb8
	s_bfe_u32 s3, ttmp6, 0x40010
	s_bfe_u32 s8, ttmp6, 0x40004
	s_add_co_i32 s3, s3, 1
	v_bfe_u32 v1, v0, 10, 10
	s_mul_i32 s9, ttmp7, s3
	s_getreg_b32 s3, hwreg(HW_REG_IB_STS2, 6, 4)
	s_add_co_i32 s8, s8, s9
	v_mov_b32_e32 v3, 0
	s_wait_kmcnt 0x0
	s_lshr_b32 s9, s2, 16
	s_cmp_eq_u32 s3, 0
	s_cselect_b32 s8, ttmp7, s8
	s_delay_alu instid0(SALU_CYCLE_1) | instskip(NEXT) | instid1(VALU_DEP_1)
	v_mad_u32 v2, s8, s9, v1
	v_cmp_gt_i64_e32 vcc_lo, s[6:7], v[2:3]
	s_and_saveexec_b32 s6, vcc_lo
	s_cbranch_execz .LBB16_5
; %bb.1:
	s_load_b64 s[6:7], s[0:1], 0x40
	v_and_b32_e32 v0, 0x3ff, v0
	v_mov_b32_e32 v1, v3
	s_and_b32 s2, s2, 0xffff
	s_wait_kmcnt 0x0
	v_lshl_add_u64 v[4:5], v[2:3], 3, s[6:7]
	s_bfe_u32 s6, ttmp6, 0x4000c
	s_and_b32 s7, ttmp6, 15
	s_add_co_i32 s6, s6, 1
	s_delay_alu instid0(SALU_CYCLE_1)
	s_mul_i32 s6, ttmp9, s6
	global_load_b64 v[6:7], v[4:5], off
	s_add_co_i32 s7, s7, s6
	s_cmp_eq_u32 s3, 0
	s_cselect_b32 s3, ttmp9, s7
	s_wait_xcnt 0x0
	v_mad_nc_u64_u32 v[4:5], s2, s3, v[0:1]
	s_wait_loadcnt 0x0
	s_delay_alu instid0(VALU_DEP_1)
	v_cmp_lt_i64_e32 vcc_lo, v[4:5], v[6:7]
	s_and_b32 exec_lo, exec_lo, vcc_lo
	s_cbranch_execz .LBB16_5
; %bb.2:
	s_clause 0x2
	s_load_b64 s[2:3], s[0:1], 0x48
	s_load_b32 s8, s[0:1], 0xc8
	s_load_b64 s[6:7], s[0:1], 0x30
	s_wait_kmcnt 0x0
	v_lshl_add_u64 v[6:7], v[2:3], 2, s[2:3]
	s_bitcmp1_b32 s8, 0
	v_lshl_add_u64 v[8:9], v[2:3], 3, s[6:7]
	s_cselect_b32 s3, -1, 0
	global_load_b32 v10, v[6:7], off
	global_load_b64 v[0:1], v[8:9], off
	s_xor_b32 s3, s3, -1
	s_wait_loadcnt 0x1
	v_cmp_neq_f32_e32 vcc_lo, 0x7f800000, v10
	s_wait_loadcnt 0x0
	v_cmp_lt_i64_e64 s2, 0, v[0:1]
	s_or_b32 s3, s3, vcc_lo
	s_delay_alu instid0(SALU_CYCLE_1) | instskip(NEXT) | instid1(SALU_CYCLE_1)
	s_and_b32 s2, s3, s2
	s_and_b32 exec_lo, exec_lo, s2
	s_cbranch_execz .LBB16_5
; %bb.3:
	s_load_b64 s[2:3], s[0:1], 0xb0
	v_mul_u64_e32 v[8:9], s[4:5], v[4:5]
	v_lshlrev_b64_e32 v[4:5], 1, v[4:5]
	s_wait_kmcnt 0x0
	v_lshl_add_u64 v[6:7], v[2:3], 3, s[2:3]
	global_load_b64 v[6:7], v[6:7], off
	s_clause 0x1
	s_load_b64 s[2:3], s[0:1], 0x38
	s_load_b256 s[20:27], s[0:1], 0x0
	s_wait_loadcnt 0x0
	s_wait_kmcnt 0x0
	v_lshl_add_u64 v[6:7], v[6:7], 2, s[2:3]
	s_delay_alu instid0(VALU_DEP_1)
	v_lshl_add_u64 v[6:7], v[8:9], 2, v[6:7]
	v_mul_u64_e32 v[8:9], s[24:25], v[2:3]
	global_load_b32 v6, v[6:7], off
	v_or_b32_e32 v4, 1, v4
	v_lshl_add_u64 v[8:9], v[8:9], 2, s[22:23]
	global_load_b32 v11, v[8:9], off
	s_clause 0x1
	s_load_b512 s[4:19], s[0:1], 0x50
	s_load_b256 s[36:43], s[0:1], 0x90
	s_wait_kmcnt 0x0
	v_mul_u64_e32 v[8:9], s[12:13], v[2:3]
	v_mul_u64_e32 v[12:13], s[16:17], v[2:3]
	;; [unrolled: 1-line block ×4, first 2 shown]
	s_load_b128 s[0:3], s[0:1], 0x20
	s_lshl_b64 s[4:5], s[4:5], 2
	s_lshl_b64 s[6:7], s[10:11], 2
	s_wait_kmcnt 0x0
	s_delay_alu instid0(VALU_DEP_4)
	v_lshl_add_u64 v[8:9], v[8:9], 2, s[2:3]
	s_lshl_b64 s[2:3], s[18:19], 2
	s_wait_loadcnt 0x1
	v_ashrrev_i32_e32 v7, 31, v6
	v_mul_u64_e32 v[16:17], s[36:37], v[4:5]
	v_mul_u64_e32 v[4:5], s[42:43], v[4:5]
	s_delay_alu instid0(VALU_DEP_3)
	v_mul_u64_e32 v[18:19], s[14:15], v[6:7]
	v_mul_u64_e32 v[20:21], s[8:9], v[6:7]
	v_lshl_add_u64 v[6:7], v[12:13], 2, s[26:27]
	v_lshl_add_u64 v[12:13], v[14:15], 2, s[0:1]
	;; [unrolled: 1-line block ×3, first 2 shown]
	s_lshl_b64 s[0:1], s[40:41], 2
	s_mov_b32 s8, 0
	v_lshl_add_u64 v[2:3], v[16:17], 2, v[6:7]
	v_lshl_add_u64 v[4:5], v[4:5], 2, v[12:13]
	;; [unrolled: 1-line block ×4, first 2 shown]
.LBB16_4:                               ; =>This Inner Loop Header: Depth=1
	global_load_b32 v12, v[2:3], off
	global_load_b32 v13, v[4:5], off
	;; [unrolled: 1-line block ×3, first 2 shown]
	v_add_nc_u64_e32 v[0:1], -1, v[0:1]
	s_wait_xcnt 0x1
	v_add_nc_u64_e32 v[4:5], s[0:1], v[4:5]
	v_add_nc_u64_e32 v[2:3], s[2:3], v[2:3]
	s_wait_xcnt 0x0
	v_add_nc_u64_e32 v[6:7], s[6:7], v[6:7]
	s_wait_loadcnt 0x1
	v_add_f32_e32 v12, v12, v13
	s_delay_alu instid0(VALU_DEP_1) | instskip(SKIP_1) | instid1(VALU_DEP_1)
	v_add_f32_e32 v12, v10, v12
	s_wait_loadcnt 0x0
	v_sub_f32_e32 v12, v12, v14
	s_delay_alu instid0(VALU_DEP_1) | instskip(SKIP_1) | instid1(VALU_DEP_2)
	v_mul_f32_e32 v13, 0x3fb8aa3b, v12
	v_cmp_ngt_f32_e32 vcc_lo, 0xc2ce8ed0, v12
	v_fma_f32 v14, 0x3fb8aa3b, v12, -v13
	v_rndne_f32_e32 v15, v13
	s_delay_alu instid0(VALU_DEP_1) | instskip(NEXT) | instid1(VALU_DEP_1)
	v_dual_fmac_f32 v14, 0x32a5705f, v12 :: v_dual_sub_f32 v13, v13, v15
	v_add_f32_e32 v13, v13, v14
	v_cvt_i32_f32_e32 v14, v15
	s_delay_alu instid0(VALU_DEP_2) | instskip(SKIP_1) | instid1(TRANS32_DEP_1)
	v_exp_f32_e32 v13, v13
	v_nop
	v_ldexp_f32 v13, v13, v14
	s_delay_alu instid0(VALU_DEP_1) | instskip(SKIP_1) | instid1(VALU_DEP_2)
	v_cndmask_b32_e32 v13, 0, v13, vcc_lo
	v_cmp_nlt_f32_e32 vcc_lo, 0x42b17218, v12
	v_cndmask_b32_e32 v12, 0x7f800000, v13, vcc_lo
	v_cmp_eq_u64_e32 vcc_lo, 0, v[0:1]
	s_delay_alu instid0(VALU_DEP_2)
	v_mul_f32_e64 v12, v11, -v12
	s_or_b32 s8, vcc_lo, s8
	global_atomic_add_f32 v[8:9], v12, off scope:SCOPE_DEV
	s_wait_xcnt 0x0
	v_add_nc_u64_e32 v[8:9], s[4:5], v[8:9]
	s_and_not1_b32 exec_lo, exec_lo, s8
	s_cbranch_execnz .LBB16_4
.LBB16_5:
	s_endpgm
	.section	.rodata,"a",@progbits
	.p2align	6, 0x0
	.amdhsa_kernel _ZN2at6native12_GLOBAL__N_145ctc_loss_backward_collect_nonblank_gpu_kernelIfiEEvPT_PKS3_lS6_S6_S6_PKlPKT0_S8_S6_llllllllllllS8_llb
		.amdhsa_group_segment_fixed_size 0
		.amdhsa_private_segment_fixed_size 0
		.amdhsa_kernarg_size 464
		.amdhsa_user_sgpr_count 2
		.amdhsa_user_sgpr_dispatch_ptr 0
		.amdhsa_user_sgpr_queue_ptr 0
		.amdhsa_user_sgpr_kernarg_segment_ptr 1
		.amdhsa_user_sgpr_dispatch_id 0
		.amdhsa_user_sgpr_kernarg_preload_length 0
		.amdhsa_user_sgpr_kernarg_preload_offset 0
		.amdhsa_user_sgpr_private_segment_size 0
		.amdhsa_wavefront_size32 1
		.amdhsa_uses_dynamic_stack 0
		.amdhsa_enable_private_segment 0
		.amdhsa_system_sgpr_workgroup_id_x 1
		.amdhsa_system_sgpr_workgroup_id_y 1
		.amdhsa_system_sgpr_workgroup_id_z 0
		.amdhsa_system_sgpr_workgroup_info 0
		.amdhsa_system_vgpr_workitem_id 1
		.amdhsa_next_free_vgpr 22
		.amdhsa_next_free_sgpr 44
		.amdhsa_named_barrier_count 0
		.amdhsa_reserve_vcc 1
		.amdhsa_float_round_mode_32 0
		.amdhsa_float_round_mode_16_64 0
		.amdhsa_float_denorm_mode_32 3
		.amdhsa_float_denorm_mode_16_64 3
		.amdhsa_fp16_overflow 0
		.amdhsa_memory_ordered 1
		.amdhsa_forward_progress 1
		.amdhsa_inst_pref_size 7
		.amdhsa_round_robin_scheduling 0
		.amdhsa_exception_fp_ieee_invalid_op 0
		.amdhsa_exception_fp_denorm_src 0
		.amdhsa_exception_fp_ieee_div_zero 0
		.amdhsa_exception_fp_ieee_overflow 0
		.amdhsa_exception_fp_ieee_underflow 0
		.amdhsa_exception_fp_ieee_inexact 0
		.amdhsa_exception_int_div_zero 0
	.end_amdhsa_kernel
	.section	.text._ZN2at6native12_GLOBAL__N_145ctc_loss_backward_collect_nonblank_gpu_kernelIfiEEvPT_PKS3_lS6_S6_S6_PKlPKT0_S8_S6_llllllllllllS8_llb,"axG",@progbits,_ZN2at6native12_GLOBAL__N_145ctc_loss_backward_collect_nonblank_gpu_kernelIfiEEvPT_PKS3_lS6_S6_S6_PKlPKT0_S8_S6_llllllllllllS8_llb,comdat
.Lfunc_end16:
	.size	_ZN2at6native12_GLOBAL__N_145ctc_loss_backward_collect_nonblank_gpu_kernelIfiEEvPT_PKS3_lS6_S6_S6_PKlPKT0_S8_S6_llllllllllllS8_llb, .Lfunc_end16-_ZN2at6native12_GLOBAL__N_145ctc_loss_backward_collect_nonblank_gpu_kernelIfiEEvPT_PKS3_lS6_S6_S6_PKlPKT0_S8_S6_llllllllllllS8_llb
                                        ; -- End function
	.set _ZN2at6native12_GLOBAL__N_145ctc_loss_backward_collect_nonblank_gpu_kernelIfiEEvPT_PKS3_lS6_S6_S6_PKlPKT0_S8_S6_llllllllllllS8_llb.num_vgpr, 22
	.set _ZN2at6native12_GLOBAL__N_145ctc_loss_backward_collect_nonblank_gpu_kernelIfiEEvPT_PKS3_lS6_S6_S6_PKlPKT0_S8_S6_llllllllllllS8_llb.num_agpr, 0
	.set _ZN2at6native12_GLOBAL__N_145ctc_loss_backward_collect_nonblank_gpu_kernelIfiEEvPT_PKS3_lS6_S6_S6_PKlPKT0_S8_S6_llllllllllllS8_llb.numbered_sgpr, 44
	.set _ZN2at6native12_GLOBAL__N_145ctc_loss_backward_collect_nonblank_gpu_kernelIfiEEvPT_PKS3_lS6_S6_S6_PKlPKT0_S8_S6_llllllllllllS8_llb.num_named_barrier, 0
	.set _ZN2at6native12_GLOBAL__N_145ctc_loss_backward_collect_nonblank_gpu_kernelIfiEEvPT_PKS3_lS6_S6_S6_PKlPKT0_S8_S6_llllllllllllS8_llb.private_seg_size, 0
	.set _ZN2at6native12_GLOBAL__N_145ctc_loss_backward_collect_nonblank_gpu_kernelIfiEEvPT_PKS3_lS6_S6_S6_PKlPKT0_S8_S6_llllllllllllS8_llb.uses_vcc, 1
	.set _ZN2at6native12_GLOBAL__N_145ctc_loss_backward_collect_nonblank_gpu_kernelIfiEEvPT_PKS3_lS6_S6_S6_PKlPKT0_S8_S6_llllllllllllS8_llb.uses_flat_scratch, 0
	.set _ZN2at6native12_GLOBAL__N_145ctc_loss_backward_collect_nonblank_gpu_kernelIfiEEvPT_PKS3_lS6_S6_S6_PKlPKT0_S8_S6_llllllllllllS8_llb.has_dyn_sized_stack, 0
	.set _ZN2at6native12_GLOBAL__N_145ctc_loss_backward_collect_nonblank_gpu_kernelIfiEEvPT_PKS3_lS6_S6_S6_PKlPKT0_S8_S6_llllllllllllS8_llb.has_recursion, 0
	.set _ZN2at6native12_GLOBAL__N_145ctc_loss_backward_collect_nonblank_gpu_kernelIfiEEvPT_PKS3_lS6_S6_S6_PKlPKT0_S8_S6_llllllllllllS8_llb.has_indirect_call, 0
	.section	.AMDGPU.csdata,"",@progbits
; Kernel info:
; codeLenInByte = 888
; TotalNumSgprs: 46
; NumVgprs: 22
; ScratchSize: 0
; MemoryBound: 0
; FloatMode: 240
; IeeeMode: 1
; LDSByteSize: 0 bytes/workgroup (compile time only)
; SGPRBlocks: 0
; VGPRBlocks: 1
; NumSGPRsForWavesPerEU: 46
; NumVGPRsForWavesPerEU: 22
; NamedBarCnt: 0
; Occupancy: 16
; WaveLimiterHint : 1
; COMPUTE_PGM_RSRC2:SCRATCH_EN: 0
; COMPUTE_PGM_RSRC2:USER_SGPR: 2
; COMPUTE_PGM_RSRC2:TRAP_HANDLER: 0
; COMPUTE_PGM_RSRC2:TGID_X_EN: 1
; COMPUTE_PGM_RSRC2:TGID_Y_EN: 1
; COMPUTE_PGM_RSRC2:TGID_Z_EN: 0
; COMPUTE_PGM_RSRC2:TIDIG_COMP_CNT: 1
	.section	.text._ZN2at6native12_GLOBAL__N_136ctc_loss_backward_collect_gpu_kernelIfiEEvPT_PKS3_lS6_S6_S6_PKllPKT0_S8_lS6_llllllllllllS8_llllb,"axG",@progbits,_ZN2at6native12_GLOBAL__N_136ctc_loss_backward_collect_gpu_kernelIfiEEvPT_PKS3_lS6_S6_S6_PKllPKT0_S8_lS6_llllllllllllS8_llllb,comdat
	.globl	_ZN2at6native12_GLOBAL__N_136ctc_loss_backward_collect_gpu_kernelIfiEEvPT_PKS3_lS6_S6_S6_PKllPKT0_S8_lS6_llllllllllllS8_llllb ; -- Begin function _ZN2at6native12_GLOBAL__N_136ctc_loss_backward_collect_gpu_kernelIfiEEvPT_PKS3_lS6_S6_S6_PKllPKT0_S8_lS6_llllllllllllS8_llllb
	.p2align	8
	.type	_ZN2at6native12_GLOBAL__N_136ctc_loss_backward_collect_gpu_kernelIfiEEvPT_PKS3_lS6_S6_S6_PKllPKT0_S8_lS6_llllllllllllS8_llllb,@function
_ZN2at6native12_GLOBAL__N_136ctc_loss_backward_collect_gpu_kernelIfiEEvPT_PKS3_lS6_S6_S6_PKllPKT0_S8_lS6_llllllllllllS8_llllb: ; @_ZN2at6native12_GLOBAL__N_136ctc_loss_backward_collect_gpu_kernelIfiEEvPT_PKS3_lS6_S6_S6_PKllPKT0_S8_lS6_llllllllllllS8_llllb
; %bb.0:
	s_load_b32 s4, s[0:1], 0xfc
	s_bfe_u32 s6, ttmp6, 0x4000c
	s_bfe_u32 s7, ttmp6, 0x40010
	v_mov_b32_e32 v1, 0
	s_clause 0x1
	s_load_b64 s[2:3], s[0:1], 0x38
	s_load_b256 s[20:27], s[0:1], 0xc8
	s_add_co_i32 s6, s6, 1
	s_add_co_i32 s7, s7, 1
	s_and_b32 s5, ttmp6, 15
	s_bfe_u32 s8, ttmp6, 0x40004
	s_mul_i32 s6, ttmp9, s6
	s_mul_i32 s7, ttmp7, s7
	s_getreg_b32 s9, hwreg(HW_REG_IB_STS2, 6, 4)
	v_bfe_u32 v4, v0, 10, 10
	v_and_b32_e32 v2, 0x3ff, v0
	v_mov_b32_e32 v3, v1
	s_add_co_i32 s5, s5, s6
	s_add_co_i32 s8, s8, s7
	s_wait_kmcnt 0x0
	s_lshr_b32 s6, s4, 16
	s_and_b32 s4, s4, 0xffff
	s_cmp_eq_u32 s9, 0
	s_cselect_b32 s5, ttmp9, s5
	s_cselect_b32 s7, ttmp7, s8
	v_mad_nc_u64_u32 v[2:3], s4, s5, v[2:3]
	v_mad_u32 v0, s7, s6, v4
	s_delay_alu instid0(VALU_DEP_2) | instskip(NEXT) | instid1(VALU_DEP_2)
	v_cmp_gt_i64_e32 vcc_lo, s[2:3], v[2:3]
	v_cmp_gt_i64_e64 s2, s[22:23], v[0:1]
	s_and_b32 s2, vcc_lo, s2
	s_delay_alu instid0(SALU_CYCLE_1)
	s_and_saveexec_b32 s3, s2
	s_cbranch_execz .LBB17_15
; %bb.1:
	s_clause 0x1
	s_load_b64 s[4:5], s[0:1], 0x30
	s_load_b64 s[2:3], s[0:1], 0x50
	s_wait_kmcnt 0x0
	v_lshl_add_u64 v[4:5], v[0:1], 3, s[4:5]
	s_load_b512 s[4:19], s[0:1], 0x60
	global_load_b64 v[4:5], v[4:5], off
	s_wait_kmcnt 0x0
	v_mul_u64_e32 v[8:9], s[6:7], v[0:1]
	v_mul_u64_e32 v[6:7], s[4:5], v[2:3]
	s_load_b64 s[4:5], s[0:1], 0x0
	v_cmp_lt_i64_e64 s6, s[2:3], 0
	s_and_b32 vcc_lo, exec_lo, s6
	s_wait_kmcnt 0x0
	v_lshl_add_u64 v[8:9], v[8:9], 2, s[4:5]
	s_mov_b64 s[4:5], 0
	s_cbranch_vccnz .LBB17_10
; %bb.2:
	s_clause 0x1
	s_load_b128 s[28:31], s[0:1], 0x40
	s_load_b64 s[6:7], s[0:1], 0xc0
	v_lshlrev_b64_e32 v[10:11], 3, v[0:1]
	s_load_b256 s[36:43], s[0:1], 0xa0
	v_mul_u64_e32 v[18:19], s[18:19], v[2:3]
	s_load_b128 s[44:47], s[0:1], 0x18
	s_wait_kmcnt 0x0
	s_delay_alu instid0(VALU_DEP_2)
	v_add_nc_u64_e32 v[12:13], s[30:31], v[10:11]
	v_add_nc_u64_e32 v[10:11], s[6:7], v[10:11]
	s_lshl_b64 s[6:7], s[2:3], 1
	v_mul_u64_e32 v[20:21], s[40:41], v[2:3]
	s_lshl_b64 s[18:19], s[42:43], 2
	global_load_b64 v[14:15], v[12:13], off
	global_load_b64 v[16:17], v[10:11], off
	s_wait_xcnt 0x0
	v_mul_u64_e32 v[10:11], s[16:17], v[0:1]
	v_mul_u64_e32 v[12:13], s[38:39], v[0:1]
	s_lshl_b64 s[16:17], s[36:37], 2
	s_delay_alu instid0(VALU_DEP_2) | instskip(NEXT) | instid1(VALU_DEP_2)
	v_lshl_add_u64 v[22:23], v[10:11], 2, s[44:45]
	v_lshl_add_u64 v[24:25], v[12:13], 2, s[46:47]
	s_wait_loadcnt 0x1
	v_lshlrev_b64_e32 v[10:11], 1, v[14:15]
	s_wait_loadcnt 0x0
	v_lshl_add_u64 v[12:13], v[16:17], 2, s[28:29]
	v_lshl_add_u64 v[14:15], v[18:19], 2, v[22:23]
	;; [unrolled: 1-line block ×4, first 2 shown]
	s_branch .LBB17_5
.LBB17_3:                               ;   in Loop: Header=BB17_5 Depth=1
	s_or_b32 exec_lo, exec_lo, s22
	global_store_b32 v[20:21], v22, off
.LBB17_4:                               ;   in Loop: Header=BB17_5 Depth=1
	s_wait_xcnt 0x0
	s_or_b32 exec_lo, exec_lo, s3
	s_add_nc_u64 s[4:5], s[4:5], 1
	v_add_nc_u64_e32 v[14:15], s[16:17], v[14:15]
	v_cmp_lt_i64_e64 s2, s[6:7], s[4:5]
	v_add_nc_u64_e32 v[16:17], s[18:19], v[16:17]
	s_and_b32 vcc_lo, exec_lo, s2
	s_cbranch_vccnz .LBB17_10
.LBB17_5:                               ; =>This Inner Loop Header: Depth=1
	s_mov_b32 s3, exec_lo
	v_cmpx_le_i64_e64 s[4:5], v[10:11]
	s_cbranch_execz .LBB17_4
; %bb.6:                                ;   in Loop: Header=BB17_5 Depth=1
	v_mov_b64_e32 v[20:21], s[26:27]
	s_bitcmp0_b64 s[4:5], 0
	s_cbranch_scc1 .LBB17_8
; %bb.7:                                ;   in Loop: Header=BB17_5 Depth=1
	s_lshr_b64 s[22:23], s[4:5], 1
	s_delay_alu instid0(SALU_CYCLE_1) | instskip(NEXT) | instid1(SALU_CYCLE_1)
	s_mul_u64 s[22:23], s[20:21], s[22:23]
	v_lshl_add_u64 v[20:21], s[22:23], 2, v[12:13]
	global_load_b32 v20, v[20:21], off
	s_wait_loadcnt 0x0
	s_wait_xcnt 0x0
	v_ashrrev_i32_e32 v21, 31, v20
.LBB17_8:                               ;   in Loop: Header=BB17_5 Depth=1
	s_delay_alu instid0(VALU_DEP_1) | instskip(SKIP_1) | instid1(VALU_DEP_1)
	v_mul_u64_e32 v[20:21], s[8:9], v[20:21]
	s_mov_b32 s22, exec_lo
	v_lshl_add_u64 v[20:21], v[20:21], 2, v[18:19]
	global_load_b32 v22, v[14:15], off
	global_load_b32 v24, v[16:17], off
	global_load_b32 v23, v[20:21], off
	s_wait_loadcnt 0x1
	v_add_f32_e32 v22, v22, v24
	s_wait_loadcnt 0x0
	s_wait_xcnt 0x0
	v_cmpx_neq_f32_e32 0xff800000, v23
	s_cbranch_execz .LBB17_3
; %bb.9:                                ;   in Loop: Header=BB17_5 Depth=1
	v_cmp_gt_f32_e32 vcc_lo, v23, v22
	v_cndmask_b32_e32 v24, v22, v23, vcc_lo
	s_delay_alu instid0(VALU_DEP_1) | instskip(NEXT) | instid1(VALU_DEP_1)
	v_sub_f32_e32 v23, v23, v24
	v_dual_mul_f32 v25, 0x3fb8aa3b, v23 :: v_dual_sub_f32 v22, v22, v24
	v_cmp_ngt_f32_e32 vcc_lo, 0xc2ce8ed0, v23
	s_delay_alu instid0(VALU_DEP_2) | instskip(SKIP_1) | instid1(VALU_DEP_1)
	v_fma_f32 v27, 0x3fb8aa3b, v23, -v25
	v_rndne_f32_e32 v28, v25
	v_dual_mul_f32 v26, 0x3fb8aa3b, v22 :: v_dual_sub_f32 v25, v25, v28
	s_delay_alu instid0(VALU_DEP_1) | instskip(SKIP_2) | instid1(VALU_DEP_3)
	v_fma_f32 v29, 0x3fb8aa3b, v22, -v26
	v_rndne_f32_e32 v30, v26
	v_fmac_f32_e32 v27, 0x32a5705f, v23
	v_fmac_f32_e32 v29, 0x32a5705f, v22
	s_delay_alu instid0(VALU_DEP_2) | instskip(SKIP_2) | instid1(VALU_DEP_3)
	v_dual_sub_f32 v26, v26, v30 :: v_dual_add_f32 v25, v25, v27
	v_cvt_i32_f32_e32 v27, v28
	v_cvt_i32_f32_e32 v28, v30
	v_add_f32_e32 v26, v26, v29
	s_delay_alu instid0(VALU_DEP_4) | instskip(NEXT) | instid1(VALU_DEP_1)
	v_exp_f32_e32 v25, v25
	v_exp_f32_e32 v26, v26
	s_delay_alu instid0(TRANS32_DEP_2) | instskip(NEXT) | instid1(TRANS32_DEP_1)
	v_ldexp_f32 v25, v25, v27
	v_ldexp_f32 v26, v26, v28
	s_delay_alu instid0(VALU_DEP_2) | instskip(SKIP_1) | instid1(VALU_DEP_3)
	v_cndmask_b32_e32 v25, 0, v25, vcc_lo
	v_cmp_ngt_f32_e32 vcc_lo, 0xc2ce8ed0, v22
	v_cndmask_b32_e32 v26, 0, v26, vcc_lo
	v_cmp_nlt_f32_e32 vcc_lo, 0x42b17218, v23
	s_delay_alu instid0(VALU_DEP_4) | instskip(SKIP_1) | instid1(VALU_DEP_4)
	v_cndmask_b32_e32 v23, 0x7f800000, v25, vcc_lo
	v_cmp_nlt_f32_e32 vcc_lo, 0x42b17218, v22
	v_cndmask_b32_e32 v22, 0x7f800000, v26, vcc_lo
	s_delay_alu instid0(VALU_DEP_1) | instskip(NEXT) | instid1(VALU_DEP_1)
	v_add_f32_e32 v22, v23, v22
	v_cmp_gt_f32_e32 vcc_lo, 0x800000, v22
	v_cndmask_b32_e64 v23, 0, 32, vcc_lo
	s_delay_alu instid0(VALU_DEP_1) | instskip(NEXT) | instid1(VALU_DEP_1)
	v_ldexp_f32 v22, v22, v23
	v_log_f32_e32 v22, v22
	v_nop
	s_delay_alu instid0(TRANS32_DEP_1) | instskip(SKIP_1) | instid1(VALU_DEP_2)
	v_mul_f32_e32 v23, 0x3f317217, v22
	v_cmp_gt_f32_e64 s2, 0x7f800000, |v22|
	v_fma_f32 v23, 0x3f317217, v22, -v23
	s_delay_alu instid0(VALU_DEP_1) | instskip(NEXT) | instid1(VALU_DEP_1)
	v_fmac_f32_e32 v23, 0x3377d1cf, v22
	v_fmac_f32_e32 v23, 0x3f317217, v22
	s_delay_alu instid0(VALU_DEP_1) | instskip(SKIP_1) | instid1(VALU_DEP_1)
	v_cndmask_b32_e64 v22, v22, v23, s2
	v_cndmask_b32_e64 v23, 0, 0x41b17218, vcc_lo
	v_sub_f32_e32 v22, v22, v23
	s_delay_alu instid0(VALU_DEP_1)
	v_add_f32_e32 v22, v24, v22
	s_branch .LBB17_3
.LBB17_10:
	v_cmp_lt_i64_e64 s2, s[24:25], 1
	s_and_b32 vcc_lo, exec_lo, s2
	s_cbranch_vccnz .LBB17_15
; %bb.11:
	s_clause 0x1
	s_load_b128 s[4:7], s[0:1], 0x8
	s_load_b64 s[2:3], s[0:1], 0x28
	s_wait_loadcnt 0x0
	v_cmp_lt_i64_e32 vcc_lo, v[2:3], v[4:5]
	s_wait_kmcnt 0x0
	v_mul_u64_e32 v[12:13], s[6:7], v[0:1]
	s_clause 0x1
	s_load_b64 s[6:7], s[0:1], 0x58
	s_load_b32 s16, s[0:1], 0xe8
	s_wait_kmcnt 0x0
	v_lshl_add_u64 v[10:11], v[0:1], 2, s[6:7]
	v_mul_u64_e32 v[0:1], s[12:13], v[0:1]
	s_bitcmp1_b32 s16, 0
	s_cselect_b32 s1, -1, 0
	global_load_b32 v10, v[10:11], off
	s_xor_b32 s1, s1, -1
	v_lshl_add_u64 v[12:13], v[12:13], 2, s[4:5]
	global_load_b32 v11, v[12:13], off
	s_wait_xcnt 0x0
	v_mul_u64_e32 v[12:13], s[10:11], v[2:3]
	v_lshl_add_u64 v[2:3], v[0:1], 2, s[2:3]
	v_lshl_add_u64 v[0:1], v[6:7], 2, v[8:9]
	s_lshl_b64 s[2:3], s[8:9], 2
	s_delay_alu instid0(VALU_DEP_2) | instskip(SKIP_3) | instid1(SALU_CYCLE_1)
	v_lshl_add_u64 v[2:3], v[12:13], 2, v[2:3]
	s_wait_loadcnt 0x1
	v_cmp_neq_f32_e64 s0, 0x7f800000, v10
	s_or_b32 s0, s1, s0
	s_and_b32 s4, vcc_lo, s0
	s_lshl_b64 s[0:1], s[14:15], 2
	s_branch .LBB17_13
.LBB17_12:                              ;   in Loop: Header=BB17_13 Depth=1
	s_wait_xcnt 0x0
	s_or_b32 exec_lo, exec_lo, s5
	global_store_b32 v[0:1], v4, off
	v_add_nc_u64_e32 v[2:3], s[0:1], v[2:3]
	s_wait_xcnt 0x0
	v_add_nc_u64_e32 v[0:1], s[2:3], v[0:1]
	s_add_nc_u64 s[24:25], s[24:25], -1
	s_delay_alu instid0(SALU_CYCLE_1)
	s_cmp_lg_u64 s[24:25], 0
	s_cbranch_scc0 .LBB17_15
.LBB17_13:                              ; =>This Inner Loop Header: Depth=1
	v_mov_b32_e32 v4, 0
	s_and_saveexec_b32 s5, s4
	s_cbranch_execz .LBB17_12
; %bb.14:                               ;   in Loop: Header=BB17_13 Depth=1
	global_load_b32 v4, v[0:1], off
	global_load_b32 v5, v[2:3], off
	s_wait_loadcnt 0x0
	v_mul_f32_e32 v6, 0x3fb8aa3b, v5
	v_cmp_ngt_f32_e32 vcc_lo, 0xc2ce8ed0, v5
	s_delay_alu instid0(VALU_DEP_2) | instskip(SKIP_2) | instid1(VALU_DEP_2)
	v_fma_f32 v9, 0x3fb8aa3b, v5, -v6
	v_add_f32_e32 v4, v10, v4
	v_rndne_f32_e32 v8, v6
	v_dual_fmac_f32 v9, 0x32a5705f, v5 :: v_dual_sub_f32 v4, v4, v5
	s_delay_alu instid0(VALU_DEP_2) | instskip(SKIP_1) | instid1(VALU_DEP_3)
	v_sub_f32_e32 v6, v6, v8
	v_cvt_i32_f32_e32 v8, v8
	v_mul_f32_e32 v7, 0x3fb8aa3b, v4
	s_delay_alu instid0(VALU_DEP_1) | instskip(SKIP_1) | instid1(VALU_DEP_1)
	v_fma_f32 v12, 0x3fb8aa3b, v4, -v7
	v_rndne_f32_e32 v13, v7
	v_dual_fmac_f32 v12, 0x32a5705f, v4 :: v_dual_sub_f32 v7, v7, v13
	v_add_f32_e32 v6, v6, v9
	v_cvt_i32_f32_e32 v9, v13
	s_delay_alu instid0(VALU_DEP_3) | instskip(NEXT) | instid1(VALU_DEP_3)
	v_add_f32_e32 v7, v7, v12
	v_exp_f32_e32 v6, v6
	s_delay_alu instid0(VALU_DEP_1) | instskip(NEXT) | instid1(TRANS32_DEP_2)
	v_exp_f32_e32 v7, v7
	v_ldexp_f32 v6, v6, v8
	s_delay_alu instid0(TRANS32_DEP_1) | instskip(NEXT) | instid1(VALU_DEP_2)
	v_ldexp_f32 v7, v7, v9
	v_cndmask_b32_e32 v6, 0, v6, vcc_lo
	v_cmp_ngt_f32_e32 vcc_lo, 0xc2ce8ed0, v4
	s_delay_alu instid0(VALU_DEP_3) | instskip(SKIP_1) | instid1(VALU_DEP_4)
	v_cndmask_b32_e32 v7, 0, v7, vcc_lo
	v_cmp_nlt_f32_e32 vcc_lo, 0x42b17218, v5
	v_cndmask_b32_e32 v5, 0x7f800000, v6, vcc_lo
	v_cmp_nlt_f32_e32 vcc_lo, 0x42b17218, v4
	s_delay_alu instid0(VALU_DEP_4) | instskip(NEXT) | instid1(VALU_DEP_1)
	v_cndmask_b32_e32 v4, 0x7f800000, v7, vcc_lo
	v_sub_f32_e32 v4, v5, v4
	s_delay_alu instid0(VALU_DEP_1)
	v_mul_f32_e32 v4, v11, v4
	s_branch .LBB17_12
.LBB17_15:
	s_endpgm
	.section	.rodata,"a",@progbits
	.p2align	6, 0x0
	.amdhsa_kernel _ZN2at6native12_GLOBAL__N_136ctc_loss_backward_collect_gpu_kernelIfiEEvPT_PKS3_lS6_S6_S6_PKllPKT0_S8_lS6_llllllllllllS8_llllb
		.amdhsa_group_segment_fixed_size 0
		.amdhsa_private_segment_fixed_size 0
		.amdhsa_kernarg_size 496
		.amdhsa_user_sgpr_count 2
		.amdhsa_user_sgpr_dispatch_ptr 0
		.amdhsa_user_sgpr_queue_ptr 0
		.amdhsa_user_sgpr_kernarg_segment_ptr 1
		.amdhsa_user_sgpr_dispatch_id 0
		.amdhsa_user_sgpr_kernarg_preload_length 0
		.amdhsa_user_sgpr_kernarg_preload_offset 0
		.amdhsa_user_sgpr_private_segment_size 0
		.amdhsa_wavefront_size32 1
		.amdhsa_uses_dynamic_stack 0
		.amdhsa_enable_private_segment 0
		.amdhsa_system_sgpr_workgroup_id_x 1
		.amdhsa_system_sgpr_workgroup_id_y 1
		.amdhsa_system_sgpr_workgroup_id_z 0
		.amdhsa_system_sgpr_workgroup_info 0
		.amdhsa_system_vgpr_workitem_id 1
		.amdhsa_next_free_vgpr 31
		.amdhsa_next_free_sgpr 48
		.amdhsa_named_barrier_count 0
		.amdhsa_reserve_vcc 1
		.amdhsa_float_round_mode_32 0
		.amdhsa_float_round_mode_16_64 0
		.amdhsa_float_denorm_mode_32 3
		.amdhsa_float_denorm_mode_16_64 3
		.amdhsa_fp16_overflow 0
		.amdhsa_memory_ordered 1
		.amdhsa_forward_progress 1
		.amdhsa_inst_pref_size 13
		.amdhsa_round_robin_scheduling 0
		.amdhsa_exception_fp_ieee_invalid_op 0
		.amdhsa_exception_fp_denorm_src 0
		.amdhsa_exception_fp_ieee_div_zero 0
		.amdhsa_exception_fp_ieee_overflow 0
		.amdhsa_exception_fp_ieee_underflow 0
		.amdhsa_exception_fp_ieee_inexact 0
		.amdhsa_exception_int_div_zero 0
	.end_amdhsa_kernel
	.section	.text._ZN2at6native12_GLOBAL__N_136ctc_loss_backward_collect_gpu_kernelIfiEEvPT_PKS3_lS6_S6_S6_PKllPKT0_S8_lS6_llllllllllllS8_llllb,"axG",@progbits,_ZN2at6native12_GLOBAL__N_136ctc_loss_backward_collect_gpu_kernelIfiEEvPT_PKS3_lS6_S6_S6_PKllPKT0_S8_lS6_llllllllllllS8_llllb,comdat
.Lfunc_end17:
	.size	_ZN2at6native12_GLOBAL__N_136ctc_loss_backward_collect_gpu_kernelIfiEEvPT_PKS3_lS6_S6_S6_PKllPKT0_S8_lS6_llllllllllllS8_llllb, .Lfunc_end17-_ZN2at6native12_GLOBAL__N_136ctc_loss_backward_collect_gpu_kernelIfiEEvPT_PKS3_lS6_S6_S6_PKllPKT0_S8_lS6_llllllllllllS8_llllb
                                        ; -- End function
	.set _ZN2at6native12_GLOBAL__N_136ctc_loss_backward_collect_gpu_kernelIfiEEvPT_PKS3_lS6_S6_S6_PKllPKT0_S8_lS6_llllllllllllS8_llllb.num_vgpr, 31
	.set _ZN2at6native12_GLOBAL__N_136ctc_loss_backward_collect_gpu_kernelIfiEEvPT_PKS3_lS6_S6_S6_PKllPKT0_S8_lS6_llllllllllllS8_llllb.num_agpr, 0
	.set _ZN2at6native12_GLOBAL__N_136ctc_loss_backward_collect_gpu_kernelIfiEEvPT_PKS3_lS6_S6_S6_PKllPKT0_S8_lS6_llllllllllllS8_llllb.numbered_sgpr, 48
	.set _ZN2at6native12_GLOBAL__N_136ctc_loss_backward_collect_gpu_kernelIfiEEvPT_PKS3_lS6_S6_S6_PKllPKT0_S8_lS6_llllllllllllS8_llllb.num_named_barrier, 0
	.set _ZN2at6native12_GLOBAL__N_136ctc_loss_backward_collect_gpu_kernelIfiEEvPT_PKS3_lS6_S6_S6_PKllPKT0_S8_lS6_llllllllllllS8_llllb.private_seg_size, 0
	.set _ZN2at6native12_GLOBAL__N_136ctc_loss_backward_collect_gpu_kernelIfiEEvPT_PKS3_lS6_S6_S6_PKllPKT0_S8_lS6_llllllllllllS8_llllb.uses_vcc, 1
	.set _ZN2at6native12_GLOBAL__N_136ctc_loss_backward_collect_gpu_kernelIfiEEvPT_PKS3_lS6_S6_S6_PKllPKT0_S8_lS6_llllllllllllS8_llllb.uses_flat_scratch, 0
	.set _ZN2at6native12_GLOBAL__N_136ctc_loss_backward_collect_gpu_kernelIfiEEvPT_PKS3_lS6_S6_S6_PKllPKT0_S8_lS6_llllllllllllS8_llllb.has_dyn_sized_stack, 0
	.set _ZN2at6native12_GLOBAL__N_136ctc_loss_backward_collect_gpu_kernelIfiEEvPT_PKS3_lS6_S6_S6_PKllPKT0_S8_lS6_llllllllllllS8_llllb.has_recursion, 0
	.set _ZN2at6native12_GLOBAL__N_136ctc_loss_backward_collect_gpu_kernelIfiEEvPT_PKS3_lS6_S6_S6_PKllPKT0_S8_lS6_llllllllllllS8_llllb.has_indirect_call, 0
	.section	.AMDGPU.csdata,"",@progbits
; Kernel info:
; codeLenInByte = 1552
; TotalNumSgprs: 50
; NumVgprs: 31
; ScratchSize: 0
; MemoryBound: 0
; FloatMode: 240
; IeeeMode: 1
; LDSByteSize: 0 bytes/workgroup (compile time only)
; SGPRBlocks: 0
; VGPRBlocks: 1
; NumSGPRsForWavesPerEU: 50
; NumVGPRsForWavesPerEU: 31
; NamedBarCnt: 0
; Occupancy: 16
; WaveLimiterHint : 1
; COMPUTE_PGM_RSRC2:SCRATCH_EN: 0
; COMPUTE_PGM_RSRC2:USER_SGPR: 2
; COMPUTE_PGM_RSRC2:TRAP_HANDLER: 0
; COMPUTE_PGM_RSRC2:TGID_X_EN: 1
; COMPUTE_PGM_RSRC2:TGID_Y_EN: 1
; COMPUTE_PGM_RSRC2:TGID_Z_EN: 0
; COMPUTE_PGM_RSRC2:TIDIG_COMP_CNT: 1
	.section	.AMDGPU.gpr_maximums,"",@progbits
	.set amdgpu.max_num_vgpr, 0
	.set amdgpu.max_num_agpr, 0
	.set amdgpu.max_num_sgpr, 0
	.section	.AMDGPU.csdata,"",@progbits
	.type	__hip_cuid_e01458c1026d4482,@object ; @__hip_cuid_e01458c1026d4482
	.section	.bss,"aw",@nobits
	.globl	__hip_cuid_e01458c1026d4482
__hip_cuid_e01458c1026d4482:
	.byte	0                               ; 0x0
	.size	__hip_cuid_e01458c1026d4482, 1

	.ident	"AMD clang version 22.0.0git (https://github.com/RadeonOpenCompute/llvm-project roc-7.2.4 26084 f58b06dce1f9c15707c5f808fd002e18c2accf7e)"
	.section	".note.GNU-stack","",@progbits
	.addrsig
	.addrsig_sym __hip_cuid_e01458c1026d4482
	.amdgpu_metadata
---
amdhsa.kernels:
  - .args:
      - .address_space:  global
        .offset:         0
        .size:           8
        .value_kind:     global_buffer
      - .address_space:  global
        .offset:         8
        .size:           8
        .value_kind:     global_buffer
      - .actual_access:  read_only
        .address_space:  global
        .offset:         16
        .size:           8
        .value_kind:     global_buffer
      - .offset:         24
        .size:           8
        .value_kind:     by_value
      - .actual_access:  read_only
        .address_space:  global
        .offset:         32
        .size:           8
        .value_kind:     global_buffer
      - .actual_access:  read_only
        .address_space:  global
        .offset:         40
        .size:           8
        .value_kind:     global_buffer
      - .offset:         48
        .size:           8
        .value_kind:     by_value
      - .actual_access:  write_only
        .address_space:  global
        .offset:         56
        .size:           8
        .value_kind:     global_buffer
      - .offset:         64
        .size:           8
        .value_kind:     by_value
      - .offset:         72
        .size:           8
        .value_kind:     by_value
      - .offset:         80
        .size:           8
        .value_kind:     by_value
      - .offset:         88
        .size:           8
        .value_kind:     by_value
      - .offset:         96
        .size:           8
        .value_kind:     by_value
      - .offset:         104
        .size:           8
        .value_kind:     by_value
      - .actual_access:  read_only
        .address_space:  global
        .offset:         112
        .size:           8
        .value_kind:     global_buffer
      - .offset:         120
        .size:           8
        .value_kind:     by_value
      - .offset:         128
        .size:           8
        .value_kind:     by_value
      - .offset:         136
        .size:           8
        .value_kind:     by_value
      - .offset:         144
        .size:           4
        .value_kind:     hidden_block_count_x
      - .offset:         148
        .size:           4
        .value_kind:     hidden_block_count_y
      - .offset:         152
        .size:           4
        .value_kind:     hidden_block_count_z
      - .offset:         156
        .size:           2
        .value_kind:     hidden_group_size_x
      - .offset:         158
        .size:           2
        .value_kind:     hidden_group_size_y
      - .offset:         160
        .size:           2
        .value_kind:     hidden_group_size_z
      - .offset:         162
        .size:           2
        .value_kind:     hidden_remainder_x
      - .offset:         164
        .size:           2
        .value_kind:     hidden_remainder_y
      - .offset:         166
        .size:           2
        .value_kind:     hidden_remainder_z
      - .offset:         184
        .size:           8
        .value_kind:     hidden_global_offset_x
      - .offset:         192
        .size:           8
        .value_kind:     hidden_global_offset_y
      - .offset:         200
        .size:           8
        .value_kind:     hidden_global_offset_z
      - .offset:         208
        .size:           2
        .value_kind:     hidden_grid_dims
    .group_segment_fixed_size: 0
    .kernarg_segment_align: 8
    .kernarg_segment_size: 400
    .language:       OpenCL C
    .language_version:
      - 2
      - 0
    .max_flat_workgroup_size: 896
    .name:           _ZN2at6native12_GLOBAL__N_129ctc_loss_log_alpha_gpu_kernelIdlEEvPT_PKS3_PKllPKT0_S8_lS4_llllllS8_lll
    .private_segment_fixed_size: 0
    .sgpr_count:     51
    .sgpr_spill_count: 0
    .symbol:         _ZN2at6native12_GLOBAL__N_129ctc_loss_log_alpha_gpu_kernelIdlEEvPT_PKS3_PKllPKT0_S8_lS4_llllllS8_lll.kd
    .uniform_work_group_size: 1
    .uses_dynamic_stack: false
    .vgpr_count:     68
    .vgpr_spill_count: 0
    .wavefront_size: 32
  - .args:
      - .address_space:  global
        .offset:         0
        .size:           8
        .value_kind:     global_buffer
      - .address_space:  global
        .offset:         8
        .size:           8
        .value_kind:     global_buffer
      - .actual_access:  read_only
        .address_space:  global
        .offset:         16
        .size:           8
        .value_kind:     global_buffer
      - .offset:         24
        .size:           8
        .value_kind:     by_value
      - .actual_access:  read_only
        .address_space:  global
        .offset:         32
        .size:           8
        .value_kind:     global_buffer
      - .actual_access:  read_only
        .address_space:  global
        .offset:         40
        .size:           8
        .value_kind:     global_buffer
      - .offset:         48
        .size:           8
        .value_kind:     by_value
      - .actual_access:  write_only
        .address_space:  global
        .offset:         56
        .size:           8
        .value_kind:     global_buffer
      - .offset:         64
        .size:           8
        .value_kind:     by_value
      - .offset:         72
        .size:           8
        .value_kind:     by_value
      - .offset:         80
        .size:           8
        .value_kind:     by_value
      - .offset:         88
        .size:           8
        .value_kind:     by_value
      - .offset:         96
        .size:           8
        .value_kind:     by_value
      - .offset:         104
        .size:           8
        .value_kind:     by_value
      - .actual_access:  read_only
        .address_space:  global
        .offset:         112
        .size:           8
        .value_kind:     global_buffer
      - .offset:         120
        .size:           8
        .value_kind:     by_value
      - .offset:         128
        .size:           8
        .value_kind:     by_value
      - .offset:         136
        .size:           8
        .value_kind:     by_value
      - .offset:         144
        .size:           4
        .value_kind:     hidden_block_count_x
      - .offset:         148
        .size:           4
        .value_kind:     hidden_block_count_y
      - .offset:         152
        .size:           4
        .value_kind:     hidden_block_count_z
      - .offset:         156
        .size:           2
        .value_kind:     hidden_group_size_x
      - .offset:         158
        .size:           2
        .value_kind:     hidden_group_size_y
      - .offset:         160
        .size:           2
        .value_kind:     hidden_group_size_z
      - .offset:         162
        .size:           2
        .value_kind:     hidden_remainder_x
      - .offset:         164
        .size:           2
        .value_kind:     hidden_remainder_y
      - .offset:         166
        .size:           2
        .value_kind:     hidden_remainder_z
      - .offset:         184
        .size:           8
        .value_kind:     hidden_global_offset_x
      - .offset:         192
        .size:           8
        .value_kind:     hidden_global_offset_y
      - .offset:         200
        .size:           8
        .value_kind:     hidden_global_offset_z
      - .offset:         208
        .size:           2
        .value_kind:     hidden_grid_dims
    .group_segment_fixed_size: 0
    .kernarg_segment_align: 8
    .kernarg_segment_size: 400
    .language:       OpenCL C
    .language_version:
      - 2
      - 0
    .max_flat_workgroup_size: 896
    .name:           _ZN2at6native12_GLOBAL__N_129ctc_loss_log_alpha_gpu_kernelIdiEEvPT_PKS3_PKllPKT0_S8_lS4_llllllS8_lll
    .private_segment_fixed_size: 0
    .sgpr_count:     51
    .sgpr_spill_count: 0
    .symbol:         _ZN2at6native12_GLOBAL__N_129ctc_loss_log_alpha_gpu_kernelIdiEEvPT_PKS3_PKllPKT0_S8_lS4_llllllS8_lll.kd
    .uniform_work_group_size: 1
    .uses_dynamic_stack: false
    .vgpr_count:     68
    .vgpr_spill_count: 0
    .wavefront_size: 32
  - .args:
      - .address_space:  global
        .offset:         0
        .size:           8
        .value_kind:     global_buffer
      - .address_space:  global
        .offset:         8
        .size:           8
        .value_kind:     global_buffer
      - .actual_access:  read_only
        .address_space:  global
        .offset:         16
        .size:           8
        .value_kind:     global_buffer
      - .offset:         24
        .size:           8
        .value_kind:     by_value
      - .actual_access:  read_only
        .address_space:  global
        .offset:         32
        .size:           8
        .value_kind:     global_buffer
      - .actual_access:  read_only
        .address_space:  global
        .offset:         40
        .size:           8
        .value_kind:     global_buffer
      - .offset:         48
        .size:           8
        .value_kind:     by_value
      - .actual_access:  write_only
        .address_space:  global
        .offset:         56
        .size:           8
        .value_kind:     global_buffer
      - .offset:         64
        .size:           8
        .value_kind:     by_value
      - .offset:         72
        .size:           8
        .value_kind:     by_value
      - .offset:         80
        .size:           8
        .value_kind:     by_value
      - .offset:         88
        .size:           8
        .value_kind:     by_value
      - .offset:         96
        .size:           8
        .value_kind:     by_value
      - .offset:         104
        .size:           8
        .value_kind:     by_value
      - .actual_access:  read_only
        .address_space:  global
        .offset:         112
        .size:           8
        .value_kind:     global_buffer
      - .offset:         120
        .size:           8
        .value_kind:     by_value
      - .offset:         128
        .size:           8
        .value_kind:     by_value
      - .offset:         136
        .size:           8
        .value_kind:     by_value
      - .offset:         144
        .size:           4
        .value_kind:     hidden_block_count_x
      - .offset:         148
        .size:           4
        .value_kind:     hidden_block_count_y
      - .offset:         152
        .size:           4
        .value_kind:     hidden_block_count_z
      - .offset:         156
        .size:           2
        .value_kind:     hidden_group_size_x
      - .offset:         158
        .size:           2
        .value_kind:     hidden_group_size_y
      - .offset:         160
        .size:           2
        .value_kind:     hidden_group_size_z
      - .offset:         162
        .size:           2
        .value_kind:     hidden_remainder_x
      - .offset:         164
        .size:           2
        .value_kind:     hidden_remainder_y
      - .offset:         166
        .size:           2
        .value_kind:     hidden_remainder_z
      - .offset:         184
        .size:           8
        .value_kind:     hidden_global_offset_x
      - .offset:         192
        .size:           8
        .value_kind:     hidden_global_offset_y
      - .offset:         200
        .size:           8
        .value_kind:     hidden_global_offset_z
      - .offset:         208
        .size:           2
        .value_kind:     hidden_grid_dims
    .group_segment_fixed_size: 0
    .kernarg_segment_align: 8
    .kernarg_segment_size: 400
    .language:       OpenCL C
    .language_version:
      - 2
      - 0
    .max_flat_workgroup_size: 1024
    .name:           _ZN2at6native12_GLOBAL__N_129ctc_loss_log_alpha_gpu_kernelIflEEvPT_PKS3_PKllPKT0_S8_lS4_llllllS8_lll
    .private_segment_fixed_size: 0
    .sgpr_count:     44
    .sgpr_spill_count: 0
    .symbol:         _ZN2at6native12_GLOBAL__N_129ctc_loss_log_alpha_gpu_kernelIflEEvPT_PKS3_PKllPKT0_S8_lS4_llllllS8_lll.kd
    .uniform_work_group_size: 1
    .uses_dynamic_stack: false
    .vgpr_count:     51
    .vgpr_spill_count: 0
    .wavefront_size: 32
  - .args:
      - .address_space:  global
        .offset:         0
        .size:           8
        .value_kind:     global_buffer
      - .address_space:  global
        .offset:         8
        .size:           8
        .value_kind:     global_buffer
      - .actual_access:  read_only
        .address_space:  global
        .offset:         16
        .size:           8
        .value_kind:     global_buffer
      - .offset:         24
        .size:           8
        .value_kind:     by_value
      - .actual_access:  read_only
        .address_space:  global
        .offset:         32
        .size:           8
        .value_kind:     global_buffer
      - .actual_access:  read_only
        .address_space:  global
        .offset:         40
        .size:           8
        .value_kind:     global_buffer
      - .offset:         48
        .size:           8
        .value_kind:     by_value
      - .actual_access:  write_only
        .address_space:  global
        .offset:         56
        .size:           8
        .value_kind:     global_buffer
      - .offset:         64
        .size:           8
        .value_kind:     by_value
      - .offset:         72
        .size:           8
        .value_kind:     by_value
      - .offset:         80
        .size:           8
        .value_kind:     by_value
      - .offset:         88
        .size:           8
        .value_kind:     by_value
      - .offset:         96
        .size:           8
        .value_kind:     by_value
      - .offset:         104
        .size:           8
        .value_kind:     by_value
      - .actual_access:  read_only
        .address_space:  global
        .offset:         112
        .size:           8
        .value_kind:     global_buffer
      - .offset:         120
        .size:           8
        .value_kind:     by_value
      - .offset:         128
        .size:           8
        .value_kind:     by_value
      - .offset:         136
        .size:           8
        .value_kind:     by_value
      - .offset:         144
        .size:           4
        .value_kind:     hidden_block_count_x
      - .offset:         148
        .size:           4
        .value_kind:     hidden_block_count_y
      - .offset:         152
        .size:           4
        .value_kind:     hidden_block_count_z
      - .offset:         156
        .size:           2
        .value_kind:     hidden_group_size_x
      - .offset:         158
        .size:           2
        .value_kind:     hidden_group_size_y
      - .offset:         160
        .size:           2
        .value_kind:     hidden_group_size_z
      - .offset:         162
        .size:           2
        .value_kind:     hidden_remainder_x
      - .offset:         164
        .size:           2
        .value_kind:     hidden_remainder_y
      - .offset:         166
        .size:           2
        .value_kind:     hidden_remainder_z
      - .offset:         184
        .size:           8
        .value_kind:     hidden_global_offset_x
      - .offset:         192
        .size:           8
        .value_kind:     hidden_global_offset_y
      - .offset:         200
        .size:           8
        .value_kind:     hidden_global_offset_z
      - .offset:         208
        .size:           2
        .value_kind:     hidden_grid_dims
    .group_segment_fixed_size: 0
    .kernarg_segment_align: 8
    .kernarg_segment_size: 400
    .language:       OpenCL C
    .language_version:
      - 2
      - 0
    .max_flat_workgroup_size: 1024
    .name:           _ZN2at6native12_GLOBAL__N_129ctc_loss_log_alpha_gpu_kernelIfiEEvPT_PKS3_PKllPKT0_S8_lS4_llllllS8_lll
    .private_segment_fixed_size: 0
    .sgpr_count:     44
    .sgpr_spill_count: 0
    .symbol:         _ZN2at6native12_GLOBAL__N_129ctc_loss_log_alpha_gpu_kernelIfiEEvPT_PKS3_PKllPKT0_S8_lS4_llllllS8_lll.kd
    .uniform_work_group_size: 1
    .uses_dynamic_stack: false
    .vgpr_count:     51
    .vgpr_spill_count: 0
    .wavefront_size: 32
  - .args:
      - .address_space:  global
        .offset:         0
        .size:           8
        .value_kind:     global_buffer
      - .address_space:  global
        .offset:         8
        .size:           8
        .value_kind:     global_buffer
      - .actual_access:  read_only
        .address_space:  global
        .offset:         16
        .size:           8
        .value_kind:     global_buffer
      - .offset:         24
        .size:           8
        .value_kind:     by_value
      - .actual_access:  read_only
        .address_space:  global
        .offset:         32
        .size:           8
        .value_kind:     global_buffer
      - .actual_access:  read_only
        .address_space:  global
        .offset:         40
        .size:           8
        .value_kind:     global_buffer
      - .offset:         48
        .size:           8
        .value_kind:     by_value
      - .offset:         56
        .size:           8
        .value_kind:     by_value
      - .offset:         64
        .size:           8
        .value_kind:     by_value
      - .offset:         72
        .size:           8
        .value_kind:     by_value
      - .offset:         80
        .size:           8
        .value_kind:     by_value
      - .offset:         88
        .size:           8
        .value_kind:     by_value
      - .offset:         96
        .size:           8
        .value_kind:     by_value
      - .actual_access:  read_only
        .address_space:  global
        .offset:         104
        .size:           8
        .value_kind:     global_buffer
      - .offset:         112
        .size:           8
        .value_kind:     by_value
      - .offset:         120
        .size:           8
        .value_kind:     by_value
      - .offset:         128
        .size:           8
        .value_kind:     by_value
      - .offset:         136
        .size:           4
        .value_kind:     hidden_block_count_x
      - .offset:         140
        .size:           4
        .value_kind:     hidden_block_count_y
      - .offset:         144
        .size:           4
        .value_kind:     hidden_block_count_z
      - .offset:         148
        .size:           2
        .value_kind:     hidden_group_size_x
      - .offset:         150
        .size:           2
        .value_kind:     hidden_group_size_y
      - .offset:         152
        .size:           2
        .value_kind:     hidden_group_size_z
      - .offset:         154
        .size:           2
        .value_kind:     hidden_remainder_x
      - .offset:         156
        .size:           2
        .value_kind:     hidden_remainder_y
      - .offset:         158
        .size:           2
        .value_kind:     hidden_remainder_z
      - .offset:         176
        .size:           8
        .value_kind:     hidden_global_offset_x
      - .offset:         184
        .size:           8
        .value_kind:     hidden_global_offset_y
      - .offset:         192
        .size:           8
        .value_kind:     hidden_global_offset_z
      - .offset:         200
        .size:           2
        .value_kind:     hidden_grid_dims
    .group_segment_fixed_size: 0
    .kernarg_segment_align: 8
    .kernarg_segment_size: 392
    .language:       OpenCL C
    .language_version:
      - 2
      - 0
    .max_flat_workgroup_size: 896
    .name:           _ZN2at6native12_GLOBAL__N_137ctc_loss_backward_log_beta_gpu_kernelIdlEEvPT_PKS3_PKllPKT0_S8_lllllllS8_lll
    .private_segment_fixed_size: 0
    .sgpr_count:     44
    .sgpr_spill_count: 0
    .symbol:         _ZN2at6native12_GLOBAL__N_137ctc_loss_backward_log_beta_gpu_kernelIdlEEvPT_PKS3_PKllPKT0_S8_lllllllS8_lll.kd
    .uniform_work_group_size: 1
    .uses_dynamic_stack: false
    .vgpr_count:     65
    .vgpr_spill_count: 0
    .wavefront_size: 32
  - .args:
      - .address_space:  global
        .offset:         0
        .size:           8
        .value_kind:     global_buffer
      - .actual_access:  read_only
        .address_space:  global
        .offset:         8
        .size:           8
        .value_kind:     global_buffer
      - .offset:         16
        .size:           8
        .value_kind:     by_value
      - .actual_access:  read_only
        .address_space:  global
        .offset:         24
        .size:           8
        .value_kind:     global_buffer
      - .actual_access:  read_only
        .address_space:  global
        .offset:         32
        .size:           8
        .value_kind:     global_buffer
      - .address_space:  global
        .offset:         40
        .size:           8
        .value_kind:     global_buffer
      - .actual_access:  read_only
        .address_space:  global
        .offset:         48
        .size:           8
        .value_kind:     global_buffer
      - .actual_access:  read_only
        .address_space:  global
        .offset:         56
        .size:           8
        .value_kind:     global_buffer
      - .actual_access:  read_only
        .address_space:  global
        .offset:         64
        .size:           8
        .value_kind:     global_buffer
      - .actual_access:  read_only
        .address_space:  global
        .offset:         72
        .size:           8
        .value_kind:     global_buffer
      - .offset:         80
        .size:           8
        .value_kind:     by_value
      - .offset:         88
        .size:           8
        .value_kind:     by_value
      - .offset:         96
        .size:           8
        .value_kind:     by_value
      - .offset:         104
        .size:           8
        .value_kind:     by_value
      - .offset:         112
        .size:           8
        .value_kind:     by_value
      - .offset:         120
        .size:           8
        .value_kind:     by_value
      - .offset:         128
        .size:           8
        .value_kind:     by_value
      - .offset:         136
        .size:           8
        .value_kind:     by_value
      - .offset:         144
        .size:           8
        .value_kind:     by_value
      - .offset:         152
        .size:           8
        .value_kind:     by_value
      - .offset:         160
        .size:           8
        .value_kind:     by_value
      - .offset:         168
        .size:           8
        .value_kind:     by_value
      - .actual_access:  read_only
        .address_space:  global
        .offset:         176
        .size:           8
        .value_kind:     global_buffer
      - .offset:         184
        .size:           8
        .value_kind:     by_value
      - .offset:         192
        .size:           8
        .value_kind:     by_value
      - .offset:         200
        .size:           1
        .value_kind:     by_value
      - .offset:         208
        .size:           4
        .value_kind:     hidden_block_count_x
      - .offset:         212
        .size:           4
        .value_kind:     hidden_block_count_y
      - .offset:         216
        .size:           4
        .value_kind:     hidden_block_count_z
      - .offset:         220
        .size:           2
        .value_kind:     hidden_group_size_x
      - .offset:         222
        .size:           2
        .value_kind:     hidden_group_size_y
      - .offset:         224
        .size:           2
        .value_kind:     hidden_group_size_z
      - .offset:         226
        .size:           2
        .value_kind:     hidden_remainder_x
      - .offset:         228
        .size:           2
        .value_kind:     hidden_remainder_y
      - .offset:         230
        .size:           2
        .value_kind:     hidden_remainder_z
      - .offset:         248
        .size:           8
        .value_kind:     hidden_global_offset_x
      - .offset:         256
        .size:           8
        .value_kind:     hidden_global_offset_y
      - .offset:         264
        .size:           8
        .value_kind:     hidden_global_offset_z
      - .offset:         272
        .size:           2
        .value_kind:     hidden_grid_dims
    .group_segment_fixed_size: 0
    .kernarg_segment_align: 8
    .kernarg_segment_size: 464
    .language:       OpenCL C
    .language_version:
      - 2
      - 0
    .max_flat_workgroup_size: 896
    .name:           _ZN2at6native12_GLOBAL__N_145ctc_loss_backward_collect_nonblank_gpu_kernelIdlEEvPT_PKS3_lS6_S6_S6_PKlPKT0_S8_S6_llllllllllllS8_llb
    .private_segment_fixed_size: 0
    .sgpr_count:     46
    .sgpr_spill_count: 0
    .symbol:         _ZN2at6native12_GLOBAL__N_145ctc_loss_backward_collect_nonblank_gpu_kernelIdlEEvPT_PKS3_lS6_S6_S6_PKlPKT0_S8_S6_llllllllllllS8_llb.kd
    .uniform_work_group_size: 1
    .uses_dynamic_stack: false
    .vgpr_count:     28
    .vgpr_spill_count: 0
    .wavefront_size: 32
  - .args:
      - .address_space:  global
        .offset:         0
        .size:           8
        .value_kind:     global_buffer
      - .actual_access:  read_only
        .address_space:  global
        .offset:         8
        .size:           8
        .value_kind:     global_buffer
      - .offset:         16
        .size:           8
        .value_kind:     by_value
      - .actual_access:  read_only
        .address_space:  global
        .offset:         24
        .size:           8
        .value_kind:     global_buffer
      - .actual_access:  read_only
        .address_space:  global
        .offset:         32
        .size:           8
        .value_kind:     global_buffer
      - .address_space:  global
        .offset:         40
        .size:           8
        .value_kind:     global_buffer
      - .actual_access:  read_only
        .address_space:  global
        .offset:         48
        .size:           8
        .value_kind:     global_buffer
      - .offset:         56
        .size:           8
        .value_kind:     by_value
      - .actual_access:  read_only
        .address_space:  global
        .offset:         64
        .size:           8
        .value_kind:     global_buffer
      - .actual_access:  read_only
        .address_space:  global
        .offset:         72
        .size:           8
        .value_kind:     global_buffer
      - .offset:         80
        .size:           8
        .value_kind:     by_value
      - .actual_access:  read_only
        .address_space:  global
        .offset:         88
        .size:           8
        .value_kind:     global_buffer
      - .offset:         96
        .size:           8
        .value_kind:     by_value
      - .offset:         104
        .size:           8
        .value_kind:     by_value
      - .offset:         112
        .size:           8
        .value_kind:     by_value
      - .offset:         120
        .size:           8
        .value_kind:     by_value
      - .offset:         128
        .size:           8
        .value_kind:     by_value
      - .offset:         136
        .size:           8
        .value_kind:     by_value
      - .offset:         144
        .size:           8
        .value_kind:     by_value
      - .offset:         152
        .size:           8
        .value_kind:     by_value
      - .offset:         160
        .size:           8
        .value_kind:     by_value
      - .offset:         168
        .size:           8
        .value_kind:     by_value
      - .offset:         176
        .size:           8
        .value_kind:     by_value
      - .offset:         184
        .size:           8
        .value_kind:     by_value
      - .actual_access:  read_only
        .address_space:  global
        .offset:         192
        .size:           8
        .value_kind:     global_buffer
      - .offset:         200
        .size:           8
        .value_kind:     by_value
      - .offset:         208
        .size:           8
        .value_kind:     by_value
      - .offset:         216
        .size:           8
        .value_kind:     by_value
      - .offset:         224
        .size:           8
        .value_kind:     by_value
      - .offset:         232
        .size:           1
        .value_kind:     by_value
      - .offset:         240
        .size:           4
        .value_kind:     hidden_block_count_x
      - .offset:         244
        .size:           4
        .value_kind:     hidden_block_count_y
      - .offset:         248
        .size:           4
        .value_kind:     hidden_block_count_z
      - .offset:         252
        .size:           2
        .value_kind:     hidden_group_size_x
      - .offset:         254
        .size:           2
        .value_kind:     hidden_group_size_y
      - .offset:         256
        .size:           2
        .value_kind:     hidden_group_size_z
      - .offset:         258
        .size:           2
        .value_kind:     hidden_remainder_x
      - .offset:         260
        .size:           2
        .value_kind:     hidden_remainder_y
      - .offset:         262
        .size:           2
        .value_kind:     hidden_remainder_z
      - .offset:         280
        .size:           8
        .value_kind:     hidden_global_offset_x
      - .offset:         288
        .size:           8
        .value_kind:     hidden_global_offset_y
      - .offset:         296
        .size:           8
        .value_kind:     hidden_global_offset_z
      - .offset:         304
        .size:           2
        .value_kind:     hidden_grid_dims
    .group_segment_fixed_size: 0
    .kernarg_segment_align: 8
    .kernarg_segment_size: 496
    .language:       OpenCL C
    .language_version:
      - 2
      - 0
    .max_flat_workgroup_size: 896
    .name:           _ZN2at6native12_GLOBAL__N_136ctc_loss_backward_collect_gpu_kernelIdlEEvPT_PKS3_lS6_S6_S6_PKllPKT0_S8_lS6_llllllllllllS8_llllb
    .private_segment_fixed_size: 0
    .sgpr_count:     46
    .sgpr_spill_count: 0
    .symbol:         _ZN2at6native12_GLOBAL__N_136ctc_loss_backward_collect_gpu_kernelIdlEEvPT_PKS3_lS6_S6_S6_PKllPKT0_S8_lS6_llllllllllllS8_llllb.kd
    .uniform_work_group_size: 1
    .uses_dynamic_stack: false
    .vgpr_count:     48
    .vgpr_spill_count: 0
    .wavefront_size: 32
  - .args:
      - .actual_access:  write_only
        .address_space:  global
        .offset:         0
        .size:           8
        .value_kind:     global_buffer
      - .actual_access:  read_only
        .address_space:  global
        .offset:         8
        .size:           8
        .value_kind:     global_buffer
      - .offset:         16
        .size:           8
        .value_kind:     by_value
      - .offset:         24
        .size:           8
        .value_kind:     by_value
      - .offset:         32
        .size:           8
        .value_kind:     by_value
      - .offset:         40
        .size:           8
        .value_kind:     by_value
      - .offset:         48
        .size:           8
        .value_kind:     by_value
      - .offset:         56
        .size:           8
        .value_kind:     by_value
      - .offset:         64
        .size:           4
        .value_kind:     hidden_block_count_x
      - .offset:         68
        .size:           4
        .value_kind:     hidden_block_count_y
      - .offset:         72
        .size:           4
        .value_kind:     hidden_block_count_z
      - .offset:         76
        .size:           2
        .value_kind:     hidden_group_size_x
      - .offset:         78
        .size:           2
        .value_kind:     hidden_group_size_y
      - .offset:         80
        .size:           2
        .value_kind:     hidden_group_size_z
      - .offset:         82
        .size:           2
        .value_kind:     hidden_remainder_x
      - .offset:         84
        .size:           2
        .value_kind:     hidden_remainder_y
      - .offset:         86
        .size:           2
        .value_kind:     hidden_remainder_z
      - .offset:         104
        .size:           8
        .value_kind:     hidden_global_offset_x
      - .offset:         112
        .size:           8
        .value_kind:     hidden_global_offset_y
      - .offset:         120
        .size:           8
        .value_kind:     hidden_global_offset_z
      - .offset:         128
        .size:           2
        .value_kind:     hidden_grid_dims
    .group_segment_fixed_size: 0
    .kernarg_segment_align: 8
    .kernarg_segment_size: 320
    .language:       OpenCL C
    .language_version:
      - 2
      - 0
    .max_flat_workgroup_size: 896
    .name:           _ZN2at6native12_GLOBAL__N_130ctc_loss_zero_padded_gradientsIdEEvPT_PKlllllll
    .private_segment_fixed_size: 0
    .sgpr_count:     22
    .sgpr_spill_count: 0
    .symbol:         _ZN2at6native12_GLOBAL__N_130ctc_loss_zero_padded_gradientsIdEEvPT_PKlllllll.kd
    .uniform_work_group_size: 1
    .uses_dynamic_stack: false
    .vgpr_count:     12
    .vgpr_spill_count: 0
    .wavefront_size: 32
  - .args:
      - .address_space:  global
        .offset:         0
        .size:           8
        .value_kind:     global_buffer
      - .address_space:  global
        .offset:         8
        .size:           8
        .value_kind:     global_buffer
      - .actual_access:  read_only
        .address_space:  global
        .offset:         16
        .size:           8
        .value_kind:     global_buffer
      - .offset:         24
        .size:           8
        .value_kind:     by_value
      - .actual_access:  read_only
        .address_space:  global
        .offset:         32
        .size:           8
        .value_kind:     global_buffer
      - .actual_access:  read_only
        .address_space:  global
        .offset:         40
        .size:           8
        .value_kind:     global_buffer
      - .offset:         48
        .size:           8
        .value_kind:     by_value
      - .offset:         56
        .size:           8
        .value_kind:     by_value
      - .offset:         64
        .size:           8
        .value_kind:     by_value
      - .offset:         72
        .size:           8
        .value_kind:     by_value
      - .offset:         80
        .size:           8
        .value_kind:     by_value
      - .offset:         88
        .size:           8
        .value_kind:     by_value
      - .offset:         96
        .size:           8
        .value_kind:     by_value
      - .actual_access:  read_only
        .address_space:  global
        .offset:         104
        .size:           8
        .value_kind:     global_buffer
      - .offset:         112
        .size:           8
        .value_kind:     by_value
      - .offset:         120
        .size:           8
        .value_kind:     by_value
      - .offset:         128
        .size:           8
        .value_kind:     by_value
      - .offset:         136
        .size:           4
        .value_kind:     hidden_block_count_x
      - .offset:         140
        .size:           4
        .value_kind:     hidden_block_count_y
      - .offset:         144
        .size:           4
        .value_kind:     hidden_block_count_z
      - .offset:         148
        .size:           2
        .value_kind:     hidden_group_size_x
      - .offset:         150
        .size:           2
        .value_kind:     hidden_group_size_y
      - .offset:         152
        .size:           2
        .value_kind:     hidden_group_size_z
      - .offset:         154
        .size:           2
        .value_kind:     hidden_remainder_x
      - .offset:         156
        .size:           2
        .value_kind:     hidden_remainder_y
      - .offset:         158
        .size:           2
        .value_kind:     hidden_remainder_z
      - .offset:         176
        .size:           8
        .value_kind:     hidden_global_offset_x
      - .offset:         184
        .size:           8
        .value_kind:     hidden_global_offset_y
      - .offset:         192
        .size:           8
        .value_kind:     hidden_global_offset_z
      - .offset:         200
        .size:           2
        .value_kind:     hidden_grid_dims
    .group_segment_fixed_size: 0
    .kernarg_segment_align: 8
    .kernarg_segment_size: 392
    .language:       OpenCL C
    .language_version:
      - 2
      - 0
    .max_flat_workgroup_size: 896
    .name:           _ZN2at6native12_GLOBAL__N_137ctc_loss_backward_log_beta_gpu_kernelIdiEEvPT_PKS3_PKllPKT0_S8_lllllllS8_lll
    .private_segment_fixed_size: 0
    .sgpr_count:     44
    .sgpr_spill_count: 0
    .symbol:         _ZN2at6native12_GLOBAL__N_137ctc_loss_backward_log_beta_gpu_kernelIdiEEvPT_PKS3_PKllPKT0_S8_lllllllS8_lll.kd
    .uniform_work_group_size: 1
    .uses_dynamic_stack: false
    .vgpr_count:     65
    .vgpr_spill_count: 0
    .wavefront_size: 32
  - .args:
      - .address_space:  global
        .offset:         0
        .size:           8
        .value_kind:     global_buffer
      - .actual_access:  read_only
        .address_space:  global
        .offset:         8
        .size:           8
        .value_kind:     global_buffer
      - .offset:         16
        .size:           8
        .value_kind:     by_value
      - .actual_access:  read_only
        .address_space:  global
        .offset:         24
        .size:           8
        .value_kind:     global_buffer
      - .actual_access:  read_only
        .address_space:  global
        .offset:         32
        .size:           8
        .value_kind:     global_buffer
      - .address_space:  global
        .offset:         40
        .size:           8
        .value_kind:     global_buffer
      - .actual_access:  read_only
        .address_space:  global
        .offset:         48
        .size:           8
        .value_kind:     global_buffer
      - .actual_access:  read_only
        .address_space:  global
        .offset:         56
        .size:           8
        .value_kind:     global_buffer
      - .actual_access:  read_only
        .address_space:  global
        .offset:         64
        .size:           8
        .value_kind:     global_buffer
      - .actual_access:  read_only
        .address_space:  global
        .offset:         72
        .size:           8
        .value_kind:     global_buffer
      - .offset:         80
        .size:           8
        .value_kind:     by_value
      - .offset:         88
        .size:           8
        .value_kind:     by_value
      - .offset:         96
        .size:           8
        .value_kind:     by_value
      - .offset:         104
        .size:           8
        .value_kind:     by_value
      - .offset:         112
        .size:           8
        .value_kind:     by_value
      - .offset:         120
        .size:           8
        .value_kind:     by_value
      - .offset:         128
        .size:           8
        .value_kind:     by_value
      - .offset:         136
        .size:           8
        .value_kind:     by_value
      - .offset:         144
        .size:           8
        .value_kind:     by_value
      - .offset:         152
        .size:           8
        .value_kind:     by_value
      - .offset:         160
        .size:           8
        .value_kind:     by_value
      - .offset:         168
        .size:           8
        .value_kind:     by_value
      - .actual_access:  read_only
        .address_space:  global
        .offset:         176
        .size:           8
        .value_kind:     global_buffer
      - .offset:         184
        .size:           8
        .value_kind:     by_value
      - .offset:         192
        .size:           8
        .value_kind:     by_value
      - .offset:         200
        .size:           1
        .value_kind:     by_value
      - .offset:         208
        .size:           4
        .value_kind:     hidden_block_count_x
      - .offset:         212
        .size:           4
        .value_kind:     hidden_block_count_y
      - .offset:         216
        .size:           4
        .value_kind:     hidden_block_count_z
      - .offset:         220
        .size:           2
        .value_kind:     hidden_group_size_x
      - .offset:         222
        .size:           2
        .value_kind:     hidden_group_size_y
      - .offset:         224
        .size:           2
        .value_kind:     hidden_group_size_z
      - .offset:         226
        .size:           2
        .value_kind:     hidden_remainder_x
      - .offset:         228
        .size:           2
        .value_kind:     hidden_remainder_y
      - .offset:         230
        .size:           2
        .value_kind:     hidden_remainder_z
      - .offset:         248
        .size:           8
        .value_kind:     hidden_global_offset_x
      - .offset:         256
        .size:           8
        .value_kind:     hidden_global_offset_y
      - .offset:         264
        .size:           8
        .value_kind:     hidden_global_offset_z
      - .offset:         272
        .size:           2
        .value_kind:     hidden_grid_dims
    .group_segment_fixed_size: 0
    .kernarg_segment_align: 8
    .kernarg_segment_size: 464
    .language:       OpenCL C
    .language_version:
      - 2
      - 0
    .max_flat_workgroup_size: 896
    .name:           _ZN2at6native12_GLOBAL__N_145ctc_loss_backward_collect_nonblank_gpu_kernelIdiEEvPT_PKS3_lS6_S6_S6_PKlPKT0_S8_S6_llllllllllllS8_llb
    .private_segment_fixed_size: 0
    .sgpr_count:     46
    .sgpr_spill_count: 0
    .symbol:         _ZN2at6native12_GLOBAL__N_145ctc_loss_backward_collect_nonblank_gpu_kernelIdiEEvPT_PKS3_lS6_S6_S6_PKlPKT0_S8_S6_llllllllllllS8_llb.kd
    .uniform_work_group_size: 1
    .uses_dynamic_stack: false
    .vgpr_count:     28
    .vgpr_spill_count: 0
    .wavefront_size: 32
  - .args:
      - .address_space:  global
        .offset:         0
        .size:           8
        .value_kind:     global_buffer
      - .actual_access:  read_only
        .address_space:  global
        .offset:         8
        .size:           8
        .value_kind:     global_buffer
      - .offset:         16
        .size:           8
        .value_kind:     by_value
      - .actual_access:  read_only
        .address_space:  global
        .offset:         24
        .size:           8
        .value_kind:     global_buffer
      - .actual_access:  read_only
        .address_space:  global
        .offset:         32
        .size:           8
        .value_kind:     global_buffer
      - .address_space:  global
        .offset:         40
        .size:           8
        .value_kind:     global_buffer
      - .actual_access:  read_only
        .address_space:  global
        .offset:         48
        .size:           8
        .value_kind:     global_buffer
      - .offset:         56
        .size:           8
        .value_kind:     by_value
      - .actual_access:  read_only
        .address_space:  global
        .offset:         64
        .size:           8
        .value_kind:     global_buffer
      - .actual_access:  read_only
        .address_space:  global
        .offset:         72
        .size:           8
        .value_kind:     global_buffer
      - .offset:         80
        .size:           8
        .value_kind:     by_value
      - .actual_access:  read_only
        .address_space:  global
        .offset:         88
        .size:           8
        .value_kind:     global_buffer
      - .offset:         96
        .size:           8
        .value_kind:     by_value
      - .offset:         104
        .size:           8
        .value_kind:     by_value
      - .offset:         112
        .size:           8
        .value_kind:     by_value
      - .offset:         120
        .size:           8
        .value_kind:     by_value
      - .offset:         128
        .size:           8
        .value_kind:     by_value
      - .offset:         136
        .size:           8
        .value_kind:     by_value
      - .offset:         144
        .size:           8
        .value_kind:     by_value
      - .offset:         152
        .size:           8
        .value_kind:     by_value
      - .offset:         160
        .size:           8
        .value_kind:     by_value
      - .offset:         168
        .size:           8
        .value_kind:     by_value
      - .offset:         176
        .size:           8
        .value_kind:     by_value
      - .offset:         184
        .size:           8
        .value_kind:     by_value
      - .actual_access:  read_only
        .address_space:  global
        .offset:         192
        .size:           8
        .value_kind:     global_buffer
      - .offset:         200
        .size:           8
        .value_kind:     by_value
      - .offset:         208
        .size:           8
        .value_kind:     by_value
      - .offset:         216
        .size:           8
        .value_kind:     by_value
      - .offset:         224
        .size:           8
        .value_kind:     by_value
      - .offset:         232
        .size:           1
        .value_kind:     by_value
      - .offset:         240
        .size:           4
        .value_kind:     hidden_block_count_x
      - .offset:         244
        .size:           4
        .value_kind:     hidden_block_count_y
      - .offset:         248
        .size:           4
        .value_kind:     hidden_block_count_z
      - .offset:         252
        .size:           2
        .value_kind:     hidden_group_size_x
      - .offset:         254
        .size:           2
        .value_kind:     hidden_group_size_y
      - .offset:         256
        .size:           2
        .value_kind:     hidden_group_size_z
      - .offset:         258
        .size:           2
        .value_kind:     hidden_remainder_x
      - .offset:         260
        .size:           2
        .value_kind:     hidden_remainder_y
      - .offset:         262
        .size:           2
        .value_kind:     hidden_remainder_z
      - .offset:         280
        .size:           8
        .value_kind:     hidden_global_offset_x
      - .offset:         288
        .size:           8
        .value_kind:     hidden_global_offset_y
      - .offset:         296
        .size:           8
        .value_kind:     hidden_global_offset_z
      - .offset:         304
        .size:           2
        .value_kind:     hidden_grid_dims
    .group_segment_fixed_size: 0
    .kernarg_segment_align: 8
    .kernarg_segment_size: 496
    .language:       OpenCL C
    .language_version:
      - 2
      - 0
    .max_flat_workgroup_size: 896
    .name:           _ZN2at6native12_GLOBAL__N_136ctc_loss_backward_collect_gpu_kernelIdiEEvPT_PKS3_lS6_S6_S6_PKllPKT0_S8_lS6_llllllllllllS8_llllb
    .private_segment_fixed_size: 0
    .sgpr_count:     46
    .sgpr_spill_count: 0
    .symbol:         _ZN2at6native12_GLOBAL__N_136ctc_loss_backward_collect_gpu_kernelIdiEEvPT_PKS3_lS6_S6_S6_PKllPKT0_S8_lS6_llllllllllllS8_llllb.kd
    .uniform_work_group_size: 1
    .uses_dynamic_stack: false
    .vgpr_count:     48
    .vgpr_spill_count: 0
    .wavefront_size: 32
  - .args:
      - .address_space:  global
        .offset:         0
        .size:           8
        .value_kind:     global_buffer
      - .address_space:  global
        .offset:         8
        .size:           8
        .value_kind:     global_buffer
      - .actual_access:  read_only
        .address_space:  global
        .offset:         16
        .size:           8
        .value_kind:     global_buffer
      - .offset:         24
        .size:           8
        .value_kind:     by_value
      - .actual_access:  read_only
        .address_space:  global
        .offset:         32
        .size:           8
        .value_kind:     global_buffer
      - .actual_access:  read_only
        .address_space:  global
        .offset:         40
        .size:           8
        .value_kind:     global_buffer
      - .offset:         48
        .size:           8
        .value_kind:     by_value
      - .offset:         56
        .size:           8
        .value_kind:     by_value
      - .offset:         64
        .size:           8
        .value_kind:     by_value
      - .offset:         72
        .size:           8
        .value_kind:     by_value
      - .offset:         80
        .size:           8
        .value_kind:     by_value
      - .offset:         88
        .size:           8
        .value_kind:     by_value
      - .offset:         96
        .size:           8
        .value_kind:     by_value
      - .actual_access:  read_only
        .address_space:  global
        .offset:         104
        .size:           8
        .value_kind:     global_buffer
      - .offset:         112
        .size:           8
        .value_kind:     by_value
      - .offset:         120
        .size:           8
        .value_kind:     by_value
      - .offset:         128
        .size:           8
        .value_kind:     by_value
      - .offset:         136
        .size:           4
        .value_kind:     hidden_block_count_x
      - .offset:         140
        .size:           4
        .value_kind:     hidden_block_count_y
      - .offset:         144
        .size:           4
        .value_kind:     hidden_block_count_z
      - .offset:         148
        .size:           2
        .value_kind:     hidden_group_size_x
      - .offset:         150
        .size:           2
        .value_kind:     hidden_group_size_y
      - .offset:         152
        .size:           2
        .value_kind:     hidden_group_size_z
      - .offset:         154
        .size:           2
        .value_kind:     hidden_remainder_x
      - .offset:         156
        .size:           2
        .value_kind:     hidden_remainder_y
      - .offset:         158
        .size:           2
        .value_kind:     hidden_remainder_z
      - .offset:         176
        .size:           8
        .value_kind:     hidden_global_offset_x
      - .offset:         184
        .size:           8
        .value_kind:     hidden_global_offset_y
      - .offset:         192
        .size:           8
        .value_kind:     hidden_global_offset_z
      - .offset:         200
        .size:           2
        .value_kind:     hidden_grid_dims
    .group_segment_fixed_size: 0
    .kernarg_segment_align: 8
    .kernarg_segment_size: 392
    .language:       OpenCL C
    .language_version:
      - 2
      - 0
    .max_flat_workgroup_size: 1024
    .name:           _ZN2at6native12_GLOBAL__N_137ctc_loss_backward_log_beta_gpu_kernelIflEEvPT_PKS3_PKllPKT0_S8_lllllllS8_lll
    .private_segment_fixed_size: 0
    .sgpr_count:     38
    .sgpr_spill_count: 0
    .symbol:         _ZN2at6native12_GLOBAL__N_137ctc_loss_backward_log_beta_gpu_kernelIflEEvPT_PKS3_PKllPKT0_S8_lllllllS8_lll.kd
    .uniform_work_group_size: 1
    .uses_dynamic_stack: false
    .vgpr_count:     48
    .vgpr_spill_count: 0
    .wavefront_size: 32
  - .args:
      - .address_space:  global
        .offset:         0
        .size:           8
        .value_kind:     global_buffer
      - .actual_access:  read_only
        .address_space:  global
        .offset:         8
        .size:           8
        .value_kind:     global_buffer
      - .offset:         16
        .size:           8
        .value_kind:     by_value
      - .actual_access:  read_only
        .address_space:  global
        .offset:         24
        .size:           8
        .value_kind:     global_buffer
      - .actual_access:  read_only
        .address_space:  global
        .offset:         32
        .size:           8
        .value_kind:     global_buffer
      - .address_space:  global
        .offset:         40
        .size:           8
        .value_kind:     global_buffer
      - .actual_access:  read_only
        .address_space:  global
        .offset:         48
        .size:           8
        .value_kind:     global_buffer
      - .actual_access:  read_only
        .address_space:  global
        .offset:         56
        .size:           8
        .value_kind:     global_buffer
      - .actual_access:  read_only
        .address_space:  global
        .offset:         64
        .size:           8
        .value_kind:     global_buffer
      - .actual_access:  read_only
        .address_space:  global
        .offset:         72
        .size:           8
        .value_kind:     global_buffer
      - .offset:         80
        .size:           8
        .value_kind:     by_value
      - .offset:         88
        .size:           8
        .value_kind:     by_value
      - .offset:         96
        .size:           8
        .value_kind:     by_value
      - .offset:         104
        .size:           8
        .value_kind:     by_value
      - .offset:         112
        .size:           8
        .value_kind:     by_value
      - .offset:         120
        .size:           8
        .value_kind:     by_value
      - .offset:         128
        .size:           8
        .value_kind:     by_value
      - .offset:         136
        .size:           8
        .value_kind:     by_value
      - .offset:         144
        .size:           8
        .value_kind:     by_value
      - .offset:         152
        .size:           8
        .value_kind:     by_value
      - .offset:         160
        .size:           8
        .value_kind:     by_value
      - .offset:         168
        .size:           8
        .value_kind:     by_value
      - .actual_access:  read_only
        .address_space:  global
        .offset:         176
        .size:           8
        .value_kind:     global_buffer
      - .offset:         184
        .size:           8
        .value_kind:     by_value
      - .offset:         192
        .size:           8
        .value_kind:     by_value
      - .offset:         200
        .size:           1
        .value_kind:     by_value
      - .offset:         208
        .size:           4
        .value_kind:     hidden_block_count_x
      - .offset:         212
        .size:           4
        .value_kind:     hidden_block_count_y
      - .offset:         216
        .size:           4
        .value_kind:     hidden_block_count_z
      - .offset:         220
        .size:           2
        .value_kind:     hidden_group_size_x
      - .offset:         222
        .size:           2
        .value_kind:     hidden_group_size_y
      - .offset:         224
        .size:           2
        .value_kind:     hidden_group_size_z
      - .offset:         226
        .size:           2
        .value_kind:     hidden_remainder_x
      - .offset:         228
        .size:           2
        .value_kind:     hidden_remainder_y
      - .offset:         230
        .size:           2
        .value_kind:     hidden_remainder_z
      - .offset:         248
        .size:           8
        .value_kind:     hidden_global_offset_x
      - .offset:         256
        .size:           8
        .value_kind:     hidden_global_offset_y
      - .offset:         264
        .size:           8
        .value_kind:     hidden_global_offset_z
      - .offset:         272
        .size:           2
        .value_kind:     hidden_grid_dims
    .group_segment_fixed_size: 0
    .kernarg_segment_align: 8
    .kernarg_segment_size: 464
    .language:       OpenCL C
    .language_version:
      - 2
      - 0
    .max_flat_workgroup_size: 1024
    .name:           _ZN2at6native12_GLOBAL__N_145ctc_loss_backward_collect_nonblank_gpu_kernelIflEEvPT_PKS3_lS6_S6_S6_PKlPKT0_S8_S6_llllllllllllS8_llb
    .private_segment_fixed_size: 0
    .sgpr_count:     46
    .sgpr_spill_count: 0
    .symbol:         _ZN2at6native12_GLOBAL__N_145ctc_loss_backward_collect_nonblank_gpu_kernelIflEEvPT_PKS3_lS6_S6_S6_PKlPKT0_S8_S6_llllllllllllS8_llb.kd
    .uniform_work_group_size: 1
    .uses_dynamic_stack: false
    .vgpr_count:     22
    .vgpr_spill_count: 0
    .wavefront_size: 32
  - .args:
      - .address_space:  global
        .offset:         0
        .size:           8
        .value_kind:     global_buffer
      - .actual_access:  read_only
        .address_space:  global
        .offset:         8
        .size:           8
        .value_kind:     global_buffer
      - .offset:         16
        .size:           8
        .value_kind:     by_value
      - .actual_access:  read_only
        .address_space:  global
        .offset:         24
        .size:           8
        .value_kind:     global_buffer
      - .actual_access:  read_only
        .address_space:  global
        .offset:         32
        .size:           8
        .value_kind:     global_buffer
      - .address_space:  global
        .offset:         40
        .size:           8
        .value_kind:     global_buffer
      - .actual_access:  read_only
        .address_space:  global
        .offset:         48
        .size:           8
        .value_kind:     global_buffer
      - .offset:         56
        .size:           8
        .value_kind:     by_value
      - .actual_access:  read_only
        .address_space:  global
        .offset:         64
        .size:           8
        .value_kind:     global_buffer
      - .actual_access:  read_only
        .address_space:  global
        .offset:         72
        .size:           8
        .value_kind:     global_buffer
      - .offset:         80
        .size:           8
        .value_kind:     by_value
      - .actual_access:  read_only
        .address_space:  global
        .offset:         88
        .size:           8
        .value_kind:     global_buffer
      - .offset:         96
        .size:           8
        .value_kind:     by_value
      - .offset:         104
        .size:           8
        .value_kind:     by_value
      - .offset:         112
        .size:           8
        .value_kind:     by_value
      - .offset:         120
        .size:           8
        .value_kind:     by_value
      - .offset:         128
        .size:           8
        .value_kind:     by_value
      - .offset:         136
        .size:           8
        .value_kind:     by_value
      - .offset:         144
        .size:           8
        .value_kind:     by_value
      - .offset:         152
        .size:           8
        .value_kind:     by_value
      - .offset:         160
        .size:           8
        .value_kind:     by_value
      - .offset:         168
        .size:           8
        .value_kind:     by_value
      - .offset:         176
        .size:           8
        .value_kind:     by_value
      - .offset:         184
        .size:           8
        .value_kind:     by_value
      - .actual_access:  read_only
        .address_space:  global
        .offset:         192
        .size:           8
        .value_kind:     global_buffer
      - .offset:         200
        .size:           8
        .value_kind:     by_value
      - .offset:         208
        .size:           8
        .value_kind:     by_value
      - .offset:         216
        .size:           8
        .value_kind:     by_value
      - .offset:         224
        .size:           8
        .value_kind:     by_value
      - .offset:         232
        .size:           1
        .value_kind:     by_value
      - .offset:         240
        .size:           4
        .value_kind:     hidden_block_count_x
      - .offset:         244
        .size:           4
        .value_kind:     hidden_block_count_y
      - .offset:         248
        .size:           4
        .value_kind:     hidden_block_count_z
      - .offset:         252
        .size:           2
        .value_kind:     hidden_group_size_x
      - .offset:         254
        .size:           2
        .value_kind:     hidden_group_size_y
      - .offset:         256
        .size:           2
        .value_kind:     hidden_group_size_z
      - .offset:         258
        .size:           2
        .value_kind:     hidden_remainder_x
      - .offset:         260
        .size:           2
        .value_kind:     hidden_remainder_y
      - .offset:         262
        .size:           2
        .value_kind:     hidden_remainder_z
      - .offset:         280
        .size:           8
        .value_kind:     hidden_global_offset_x
      - .offset:         288
        .size:           8
        .value_kind:     hidden_global_offset_y
      - .offset:         296
        .size:           8
        .value_kind:     hidden_global_offset_z
      - .offset:         304
        .size:           2
        .value_kind:     hidden_grid_dims
    .group_segment_fixed_size: 0
    .kernarg_segment_align: 8
    .kernarg_segment_size: 496
    .language:       OpenCL C
    .language_version:
      - 2
      - 0
    .max_flat_workgroup_size: 1024
    .name:           _ZN2at6native12_GLOBAL__N_136ctc_loss_backward_collect_gpu_kernelIflEEvPT_PKS3_lS6_S6_S6_PKllPKT0_S8_lS6_llllllllllllS8_llllb
    .private_segment_fixed_size: 0
    .sgpr_count:     50
    .sgpr_spill_count: 0
    .symbol:         _ZN2at6native12_GLOBAL__N_136ctc_loss_backward_collect_gpu_kernelIflEEvPT_PKS3_lS6_S6_S6_PKllPKT0_S8_lS6_llllllllllllS8_llllb.kd
    .uniform_work_group_size: 1
    .uses_dynamic_stack: false
    .vgpr_count:     31
    .vgpr_spill_count: 0
    .wavefront_size: 32
  - .args:
      - .actual_access:  write_only
        .address_space:  global
        .offset:         0
        .size:           8
        .value_kind:     global_buffer
      - .actual_access:  read_only
        .address_space:  global
        .offset:         8
        .size:           8
        .value_kind:     global_buffer
      - .offset:         16
        .size:           8
        .value_kind:     by_value
      - .offset:         24
        .size:           8
        .value_kind:     by_value
      - .offset:         32
        .size:           8
        .value_kind:     by_value
      - .offset:         40
        .size:           8
        .value_kind:     by_value
      - .offset:         48
        .size:           8
        .value_kind:     by_value
      - .offset:         56
        .size:           8
        .value_kind:     by_value
      - .offset:         64
        .size:           4
        .value_kind:     hidden_block_count_x
      - .offset:         68
        .size:           4
        .value_kind:     hidden_block_count_y
      - .offset:         72
        .size:           4
        .value_kind:     hidden_block_count_z
      - .offset:         76
        .size:           2
        .value_kind:     hidden_group_size_x
      - .offset:         78
        .size:           2
        .value_kind:     hidden_group_size_y
      - .offset:         80
        .size:           2
        .value_kind:     hidden_group_size_z
      - .offset:         82
        .size:           2
        .value_kind:     hidden_remainder_x
      - .offset:         84
        .size:           2
        .value_kind:     hidden_remainder_y
      - .offset:         86
        .size:           2
        .value_kind:     hidden_remainder_z
      - .offset:         104
        .size:           8
        .value_kind:     hidden_global_offset_x
      - .offset:         112
        .size:           8
        .value_kind:     hidden_global_offset_y
      - .offset:         120
        .size:           8
        .value_kind:     hidden_global_offset_z
      - .offset:         128
        .size:           2
        .value_kind:     hidden_grid_dims
    .group_segment_fixed_size: 0
    .kernarg_segment_align: 8
    .kernarg_segment_size: 320
    .language:       OpenCL C
    .language_version:
      - 2
      - 0
    .max_flat_workgroup_size: 1024
    .name:           _ZN2at6native12_GLOBAL__N_130ctc_loss_zero_padded_gradientsIfEEvPT_PKlllllll
    .private_segment_fixed_size: 0
    .sgpr_count:     22
    .sgpr_spill_count: 0
    .symbol:         _ZN2at6native12_GLOBAL__N_130ctc_loss_zero_padded_gradientsIfEEvPT_PKlllllll.kd
    .uniform_work_group_size: 1
    .uses_dynamic_stack: false
    .vgpr_count:     10
    .vgpr_spill_count: 0
    .wavefront_size: 32
  - .args:
      - .address_space:  global
        .offset:         0
        .size:           8
        .value_kind:     global_buffer
      - .address_space:  global
        .offset:         8
        .size:           8
        .value_kind:     global_buffer
      - .actual_access:  read_only
        .address_space:  global
        .offset:         16
        .size:           8
        .value_kind:     global_buffer
      - .offset:         24
        .size:           8
        .value_kind:     by_value
      - .actual_access:  read_only
        .address_space:  global
        .offset:         32
        .size:           8
        .value_kind:     global_buffer
      - .actual_access:  read_only
        .address_space:  global
        .offset:         40
        .size:           8
        .value_kind:     global_buffer
      - .offset:         48
        .size:           8
        .value_kind:     by_value
      - .offset:         56
        .size:           8
        .value_kind:     by_value
      - .offset:         64
        .size:           8
        .value_kind:     by_value
      - .offset:         72
        .size:           8
        .value_kind:     by_value
      - .offset:         80
        .size:           8
        .value_kind:     by_value
      - .offset:         88
        .size:           8
        .value_kind:     by_value
      - .offset:         96
        .size:           8
        .value_kind:     by_value
      - .actual_access:  read_only
        .address_space:  global
        .offset:         104
        .size:           8
        .value_kind:     global_buffer
      - .offset:         112
        .size:           8
        .value_kind:     by_value
      - .offset:         120
        .size:           8
        .value_kind:     by_value
      - .offset:         128
        .size:           8
        .value_kind:     by_value
      - .offset:         136
        .size:           4
        .value_kind:     hidden_block_count_x
      - .offset:         140
        .size:           4
        .value_kind:     hidden_block_count_y
      - .offset:         144
        .size:           4
        .value_kind:     hidden_block_count_z
      - .offset:         148
        .size:           2
        .value_kind:     hidden_group_size_x
      - .offset:         150
        .size:           2
        .value_kind:     hidden_group_size_y
      - .offset:         152
        .size:           2
        .value_kind:     hidden_group_size_z
      - .offset:         154
        .size:           2
        .value_kind:     hidden_remainder_x
      - .offset:         156
        .size:           2
        .value_kind:     hidden_remainder_y
      - .offset:         158
        .size:           2
        .value_kind:     hidden_remainder_z
      - .offset:         176
        .size:           8
        .value_kind:     hidden_global_offset_x
      - .offset:         184
        .size:           8
        .value_kind:     hidden_global_offset_y
      - .offset:         192
        .size:           8
        .value_kind:     hidden_global_offset_z
      - .offset:         200
        .size:           2
        .value_kind:     hidden_grid_dims
    .group_segment_fixed_size: 0
    .kernarg_segment_align: 8
    .kernarg_segment_size: 392
    .language:       OpenCL C
    .language_version:
      - 2
      - 0
    .max_flat_workgroup_size: 1024
    .name:           _ZN2at6native12_GLOBAL__N_137ctc_loss_backward_log_beta_gpu_kernelIfiEEvPT_PKS3_PKllPKT0_S8_lllllllS8_lll
    .private_segment_fixed_size: 0
    .sgpr_count:     38
    .sgpr_spill_count: 0
    .symbol:         _ZN2at6native12_GLOBAL__N_137ctc_loss_backward_log_beta_gpu_kernelIfiEEvPT_PKS3_PKllPKT0_S8_lllllllS8_lll.kd
    .uniform_work_group_size: 1
    .uses_dynamic_stack: false
    .vgpr_count:     48
    .vgpr_spill_count: 0
    .wavefront_size: 32
  - .args:
      - .address_space:  global
        .offset:         0
        .size:           8
        .value_kind:     global_buffer
      - .actual_access:  read_only
        .address_space:  global
        .offset:         8
        .size:           8
        .value_kind:     global_buffer
      - .offset:         16
        .size:           8
        .value_kind:     by_value
      - .actual_access:  read_only
        .address_space:  global
        .offset:         24
        .size:           8
        .value_kind:     global_buffer
      - .actual_access:  read_only
        .address_space:  global
        .offset:         32
        .size:           8
        .value_kind:     global_buffer
      - .address_space:  global
        .offset:         40
        .size:           8
        .value_kind:     global_buffer
      - .actual_access:  read_only
        .address_space:  global
        .offset:         48
        .size:           8
        .value_kind:     global_buffer
      - .actual_access:  read_only
        .address_space:  global
        .offset:         56
        .size:           8
        .value_kind:     global_buffer
      - .actual_access:  read_only
        .address_space:  global
        .offset:         64
        .size:           8
        .value_kind:     global_buffer
      - .actual_access:  read_only
        .address_space:  global
        .offset:         72
        .size:           8
        .value_kind:     global_buffer
      - .offset:         80
        .size:           8
        .value_kind:     by_value
      - .offset:         88
        .size:           8
        .value_kind:     by_value
      - .offset:         96
        .size:           8
        .value_kind:     by_value
      - .offset:         104
        .size:           8
        .value_kind:     by_value
      - .offset:         112
        .size:           8
        .value_kind:     by_value
      - .offset:         120
        .size:           8
        .value_kind:     by_value
      - .offset:         128
        .size:           8
        .value_kind:     by_value
      - .offset:         136
        .size:           8
        .value_kind:     by_value
      - .offset:         144
        .size:           8
        .value_kind:     by_value
      - .offset:         152
        .size:           8
        .value_kind:     by_value
      - .offset:         160
        .size:           8
        .value_kind:     by_value
      - .offset:         168
        .size:           8
        .value_kind:     by_value
      - .actual_access:  read_only
        .address_space:  global
        .offset:         176
        .size:           8
        .value_kind:     global_buffer
      - .offset:         184
        .size:           8
        .value_kind:     by_value
      - .offset:         192
        .size:           8
        .value_kind:     by_value
      - .offset:         200
        .size:           1
        .value_kind:     by_value
      - .offset:         208
        .size:           4
        .value_kind:     hidden_block_count_x
      - .offset:         212
        .size:           4
        .value_kind:     hidden_block_count_y
      - .offset:         216
        .size:           4
        .value_kind:     hidden_block_count_z
      - .offset:         220
        .size:           2
        .value_kind:     hidden_group_size_x
      - .offset:         222
        .size:           2
        .value_kind:     hidden_group_size_y
      - .offset:         224
        .size:           2
        .value_kind:     hidden_group_size_z
      - .offset:         226
        .size:           2
        .value_kind:     hidden_remainder_x
      - .offset:         228
        .size:           2
        .value_kind:     hidden_remainder_y
      - .offset:         230
        .size:           2
        .value_kind:     hidden_remainder_z
      - .offset:         248
        .size:           8
        .value_kind:     hidden_global_offset_x
      - .offset:         256
        .size:           8
        .value_kind:     hidden_global_offset_y
      - .offset:         264
        .size:           8
        .value_kind:     hidden_global_offset_z
      - .offset:         272
        .size:           2
        .value_kind:     hidden_grid_dims
    .group_segment_fixed_size: 0
    .kernarg_segment_align: 8
    .kernarg_segment_size: 464
    .language:       OpenCL C
    .language_version:
      - 2
      - 0
    .max_flat_workgroup_size: 1024
    .name:           _ZN2at6native12_GLOBAL__N_145ctc_loss_backward_collect_nonblank_gpu_kernelIfiEEvPT_PKS3_lS6_S6_S6_PKlPKT0_S8_S6_llllllllllllS8_llb
    .private_segment_fixed_size: 0
    .sgpr_count:     46
    .sgpr_spill_count: 0
    .symbol:         _ZN2at6native12_GLOBAL__N_145ctc_loss_backward_collect_nonblank_gpu_kernelIfiEEvPT_PKS3_lS6_S6_S6_PKlPKT0_S8_S6_llllllllllllS8_llb.kd
    .uniform_work_group_size: 1
    .uses_dynamic_stack: false
    .vgpr_count:     22
    .vgpr_spill_count: 0
    .wavefront_size: 32
  - .args:
      - .address_space:  global
        .offset:         0
        .size:           8
        .value_kind:     global_buffer
      - .actual_access:  read_only
        .address_space:  global
        .offset:         8
        .size:           8
        .value_kind:     global_buffer
      - .offset:         16
        .size:           8
        .value_kind:     by_value
      - .actual_access:  read_only
        .address_space:  global
        .offset:         24
        .size:           8
        .value_kind:     global_buffer
      - .actual_access:  read_only
        .address_space:  global
        .offset:         32
        .size:           8
        .value_kind:     global_buffer
      - .address_space:  global
        .offset:         40
        .size:           8
        .value_kind:     global_buffer
      - .actual_access:  read_only
        .address_space:  global
        .offset:         48
        .size:           8
        .value_kind:     global_buffer
      - .offset:         56
        .size:           8
        .value_kind:     by_value
      - .actual_access:  read_only
        .address_space:  global
        .offset:         64
        .size:           8
        .value_kind:     global_buffer
      - .actual_access:  read_only
        .address_space:  global
        .offset:         72
        .size:           8
        .value_kind:     global_buffer
      - .offset:         80
        .size:           8
        .value_kind:     by_value
      - .actual_access:  read_only
        .address_space:  global
        .offset:         88
        .size:           8
        .value_kind:     global_buffer
      - .offset:         96
        .size:           8
        .value_kind:     by_value
      - .offset:         104
        .size:           8
        .value_kind:     by_value
      - .offset:         112
        .size:           8
        .value_kind:     by_value
      - .offset:         120
        .size:           8
        .value_kind:     by_value
      - .offset:         128
        .size:           8
        .value_kind:     by_value
      - .offset:         136
        .size:           8
        .value_kind:     by_value
      - .offset:         144
        .size:           8
        .value_kind:     by_value
      - .offset:         152
        .size:           8
        .value_kind:     by_value
      - .offset:         160
        .size:           8
        .value_kind:     by_value
      - .offset:         168
        .size:           8
        .value_kind:     by_value
      - .offset:         176
        .size:           8
        .value_kind:     by_value
      - .offset:         184
        .size:           8
        .value_kind:     by_value
      - .actual_access:  read_only
        .address_space:  global
        .offset:         192
        .size:           8
        .value_kind:     global_buffer
      - .offset:         200
        .size:           8
        .value_kind:     by_value
      - .offset:         208
        .size:           8
        .value_kind:     by_value
      - .offset:         216
        .size:           8
        .value_kind:     by_value
      - .offset:         224
        .size:           8
        .value_kind:     by_value
      - .offset:         232
        .size:           1
        .value_kind:     by_value
      - .offset:         240
        .size:           4
        .value_kind:     hidden_block_count_x
      - .offset:         244
        .size:           4
        .value_kind:     hidden_block_count_y
      - .offset:         248
        .size:           4
        .value_kind:     hidden_block_count_z
      - .offset:         252
        .size:           2
        .value_kind:     hidden_group_size_x
      - .offset:         254
        .size:           2
        .value_kind:     hidden_group_size_y
      - .offset:         256
        .size:           2
        .value_kind:     hidden_group_size_z
      - .offset:         258
        .size:           2
        .value_kind:     hidden_remainder_x
      - .offset:         260
        .size:           2
        .value_kind:     hidden_remainder_y
      - .offset:         262
        .size:           2
        .value_kind:     hidden_remainder_z
      - .offset:         280
        .size:           8
        .value_kind:     hidden_global_offset_x
      - .offset:         288
        .size:           8
        .value_kind:     hidden_global_offset_y
      - .offset:         296
        .size:           8
        .value_kind:     hidden_global_offset_z
      - .offset:         304
        .size:           2
        .value_kind:     hidden_grid_dims
    .group_segment_fixed_size: 0
    .kernarg_segment_align: 8
    .kernarg_segment_size: 496
    .language:       OpenCL C
    .language_version:
      - 2
      - 0
    .max_flat_workgroup_size: 1024
    .name:           _ZN2at6native12_GLOBAL__N_136ctc_loss_backward_collect_gpu_kernelIfiEEvPT_PKS3_lS6_S6_S6_PKllPKT0_S8_lS6_llllllllllllS8_llllb
    .private_segment_fixed_size: 0
    .sgpr_count:     50
    .sgpr_spill_count: 0
    .symbol:         _ZN2at6native12_GLOBAL__N_136ctc_loss_backward_collect_gpu_kernelIfiEEvPT_PKS3_lS6_S6_S6_PKllPKT0_S8_lS6_llllllllllllS8_llllb.kd
    .uniform_work_group_size: 1
    .uses_dynamic_stack: false
    .vgpr_count:     31
    .vgpr_spill_count: 0
    .wavefront_size: 32
amdhsa.target:   amdgcn-amd-amdhsa--gfx1250
amdhsa.version:
  - 1
  - 2
...

	.end_amdgpu_metadata
